;; amdgpu-corpus repo=ROCm/rocFFT kind=compiled arch=gfx1100 opt=O3
	.text
	.amdgcn_target "amdgcn-amd-amdhsa--gfx1100"
	.amdhsa_code_object_version 6
	.protected	fft_rtc_back_len3456_factors_6_6_6_4_4_wgs_144_tpt_144_halfLds_sp_ip_CI_unitstride_sbrr_C2R_dirReg ; -- Begin function fft_rtc_back_len3456_factors_6_6_6_4_4_wgs_144_tpt_144_halfLds_sp_ip_CI_unitstride_sbrr_C2R_dirReg
	.globl	fft_rtc_back_len3456_factors_6_6_6_4_4_wgs_144_tpt_144_halfLds_sp_ip_CI_unitstride_sbrr_C2R_dirReg
	.p2align	8
	.type	fft_rtc_back_len3456_factors_6_6_6_4_4_wgs_144_tpt_144_halfLds_sp_ip_CI_unitstride_sbrr_C2R_dirReg,@function
fft_rtc_back_len3456_factors_6_6_6_4_4_wgs_144_tpt_144_halfLds_sp_ip_CI_unitstride_sbrr_C2R_dirReg: ; @fft_rtc_back_len3456_factors_6_6_6_4_4_wgs_144_tpt_144_halfLds_sp_ip_CI_unitstride_sbrr_C2R_dirReg
; %bb.0:
	s_clause 0x2
	s_load_b128 s[4:7], s[0:1], 0x0
	s_load_b64 s[8:9], s[0:1], 0x50
	s_load_b64 s[10:11], s[0:1], 0x18
	v_mul_u32_u24_e32 v1, 0x1c8, v0
	v_mov_b32_e32 v3, 0
	v_mov_b32_e32 v4, 0
	s_delay_alu instid0(VALU_DEP_3) | instskip(SKIP_1) | instid1(VALU_DEP_1)
	v_lshrrev_b32_e32 v2, 16, v1
	v_mov_b32_e32 v1, 0
	v_dual_mov_b32 v6, v1 :: v_dual_add_nc_u32 v5, s15, v2
	s_waitcnt lgkmcnt(0)
	v_cmp_lt_u64_e64 s2, s[6:7], 2
	s_delay_alu instid0(VALU_DEP_1)
	s_and_b32 vcc_lo, exec_lo, s2
	s_cbranch_vccnz .LBB0_8
; %bb.1:
	s_load_b64 s[2:3], s[0:1], 0x10
	v_mov_b32_e32 v3, 0
	s_add_u32 s12, s10, 8
	v_mov_b32_e32 v4, 0
	s_addc_u32 s13, s11, 0
	s_mov_b64 s[16:17], 1
	s_waitcnt lgkmcnt(0)
	s_add_u32 s14, s2, 8
	s_addc_u32 s15, s3, 0
.LBB0_2:                                ; =>This Inner Loop Header: Depth=1
	s_load_b64 s[18:19], s[14:15], 0x0
                                        ; implicit-def: $vgpr7_vgpr8
	s_mov_b32 s2, exec_lo
	s_waitcnt lgkmcnt(0)
	v_or_b32_e32 v2, s19, v6
	s_delay_alu instid0(VALU_DEP_1)
	v_cmpx_ne_u64_e32 0, v[1:2]
	s_xor_b32 s3, exec_lo, s2
	s_cbranch_execz .LBB0_4
; %bb.3:                                ;   in Loop: Header=BB0_2 Depth=1
	v_cvt_f32_u32_e32 v2, s18
	v_cvt_f32_u32_e32 v7, s19
	s_sub_u32 s2, 0, s18
	s_subb_u32 s20, 0, s19
	s_delay_alu instid0(VALU_DEP_1) | instskip(NEXT) | instid1(VALU_DEP_1)
	v_fmac_f32_e32 v2, 0x4f800000, v7
	v_rcp_f32_e32 v2, v2
	s_waitcnt_depctr 0xfff
	v_mul_f32_e32 v2, 0x5f7ffffc, v2
	s_delay_alu instid0(VALU_DEP_1) | instskip(NEXT) | instid1(VALU_DEP_1)
	v_mul_f32_e32 v7, 0x2f800000, v2
	v_trunc_f32_e32 v7, v7
	s_delay_alu instid0(VALU_DEP_1) | instskip(SKIP_1) | instid1(VALU_DEP_2)
	v_fmac_f32_e32 v2, 0xcf800000, v7
	v_cvt_u32_f32_e32 v7, v7
	v_cvt_u32_f32_e32 v2, v2
	s_delay_alu instid0(VALU_DEP_2) | instskip(NEXT) | instid1(VALU_DEP_2)
	v_mul_lo_u32 v8, s2, v7
	v_mul_hi_u32 v9, s2, v2
	v_mul_lo_u32 v10, s20, v2
	s_delay_alu instid0(VALU_DEP_2) | instskip(SKIP_1) | instid1(VALU_DEP_2)
	v_add_nc_u32_e32 v8, v9, v8
	v_mul_lo_u32 v9, s2, v2
	v_add_nc_u32_e32 v8, v8, v10
	s_delay_alu instid0(VALU_DEP_2) | instskip(NEXT) | instid1(VALU_DEP_2)
	v_mul_hi_u32 v10, v2, v9
	v_mul_lo_u32 v11, v2, v8
	v_mul_hi_u32 v12, v2, v8
	v_mul_hi_u32 v13, v7, v9
	v_mul_lo_u32 v9, v7, v9
	v_mul_hi_u32 v14, v7, v8
	v_mul_lo_u32 v8, v7, v8
	v_add_co_u32 v10, vcc_lo, v10, v11
	v_add_co_ci_u32_e32 v11, vcc_lo, 0, v12, vcc_lo
	s_delay_alu instid0(VALU_DEP_2) | instskip(NEXT) | instid1(VALU_DEP_2)
	v_add_co_u32 v9, vcc_lo, v10, v9
	v_add_co_ci_u32_e32 v9, vcc_lo, v11, v13, vcc_lo
	v_add_co_ci_u32_e32 v10, vcc_lo, 0, v14, vcc_lo
	s_delay_alu instid0(VALU_DEP_2) | instskip(NEXT) | instid1(VALU_DEP_2)
	v_add_co_u32 v8, vcc_lo, v9, v8
	v_add_co_ci_u32_e32 v9, vcc_lo, 0, v10, vcc_lo
	s_delay_alu instid0(VALU_DEP_2) | instskip(NEXT) | instid1(VALU_DEP_2)
	v_add_co_u32 v2, vcc_lo, v2, v8
	v_add_co_ci_u32_e32 v7, vcc_lo, v7, v9, vcc_lo
	s_delay_alu instid0(VALU_DEP_2) | instskip(SKIP_1) | instid1(VALU_DEP_3)
	v_mul_hi_u32 v8, s2, v2
	v_mul_lo_u32 v10, s20, v2
	v_mul_lo_u32 v9, s2, v7
	s_delay_alu instid0(VALU_DEP_1) | instskip(SKIP_1) | instid1(VALU_DEP_2)
	v_add_nc_u32_e32 v8, v8, v9
	v_mul_lo_u32 v9, s2, v2
	v_add_nc_u32_e32 v8, v8, v10
	s_delay_alu instid0(VALU_DEP_2) | instskip(NEXT) | instid1(VALU_DEP_2)
	v_mul_hi_u32 v10, v2, v9
	v_mul_lo_u32 v11, v2, v8
	v_mul_hi_u32 v12, v2, v8
	v_mul_hi_u32 v13, v7, v9
	v_mul_lo_u32 v9, v7, v9
	v_mul_hi_u32 v14, v7, v8
	v_mul_lo_u32 v8, v7, v8
	v_add_co_u32 v10, vcc_lo, v10, v11
	v_add_co_ci_u32_e32 v11, vcc_lo, 0, v12, vcc_lo
	s_delay_alu instid0(VALU_DEP_2) | instskip(NEXT) | instid1(VALU_DEP_2)
	v_add_co_u32 v9, vcc_lo, v10, v9
	v_add_co_ci_u32_e32 v9, vcc_lo, v11, v13, vcc_lo
	v_add_co_ci_u32_e32 v10, vcc_lo, 0, v14, vcc_lo
	s_delay_alu instid0(VALU_DEP_2) | instskip(NEXT) | instid1(VALU_DEP_2)
	v_add_co_u32 v8, vcc_lo, v9, v8
	v_add_co_ci_u32_e32 v9, vcc_lo, 0, v10, vcc_lo
	s_delay_alu instid0(VALU_DEP_2) | instskip(NEXT) | instid1(VALU_DEP_2)
	v_add_co_u32 v2, vcc_lo, v2, v8
	v_add_co_ci_u32_e32 v13, vcc_lo, v7, v9, vcc_lo
	s_delay_alu instid0(VALU_DEP_2) | instskip(SKIP_1) | instid1(VALU_DEP_3)
	v_mul_hi_u32 v14, v5, v2
	v_mad_u64_u32 v[9:10], null, v6, v2, 0
	v_mad_u64_u32 v[7:8], null, v5, v13, 0
	;; [unrolled: 1-line block ×3, first 2 shown]
	s_delay_alu instid0(VALU_DEP_2) | instskip(NEXT) | instid1(VALU_DEP_3)
	v_add_co_u32 v2, vcc_lo, v14, v7
	v_add_co_ci_u32_e32 v7, vcc_lo, 0, v8, vcc_lo
	s_delay_alu instid0(VALU_DEP_2) | instskip(NEXT) | instid1(VALU_DEP_2)
	v_add_co_u32 v2, vcc_lo, v2, v9
	v_add_co_ci_u32_e32 v2, vcc_lo, v7, v10, vcc_lo
	v_add_co_ci_u32_e32 v7, vcc_lo, 0, v12, vcc_lo
	s_delay_alu instid0(VALU_DEP_2) | instskip(NEXT) | instid1(VALU_DEP_2)
	v_add_co_u32 v2, vcc_lo, v2, v11
	v_add_co_ci_u32_e32 v9, vcc_lo, 0, v7, vcc_lo
	s_delay_alu instid0(VALU_DEP_2) | instskip(SKIP_1) | instid1(VALU_DEP_3)
	v_mul_lo_u32 v10, s19, v2
	v_mad_u64_u32 v[7:8], null, s18, v2, 0
	v_mul_lo_u32 v11, s18, v9
	s_delay_alu instid0(VALU_DEP_2) | instskip(NEXT) | instid1(VALU_DEP_2)
	v_sub_co_u32 v7, vcc_lo, v5, v7
	v_add3_u32 v8, v8, v11, v10
	s_delay_alu instid0(VALU_DEP_1) | instskip(NEXT) | instid1(VALU_DEP_1)
	v_sub_nc_u32_e32 v10, v6, v8
	v_subrev_co_ci_u32_e64 v10, s2, s19, v10, vcc_lo
	v_add_co_u32 v11, s2, v2, 2
	s_delay_alu instid0(VALU_DEP_1) | instskip(SKIP_3) | instid1(VALU_DEP_3)
	v_add_co_ci_u32_e64 v12, s2, 0, v9, s2
	v_sub_co_u32 v13, s2, v7, s18
	v_sub_co_ci_u32_e32 v8, vcc_lo, v6, v8, vcc_lo
	v_subrev_co_ci_u32_e64 v10, s2, 0, v10, s2
	v_cmp_le_u32_e32 vcc_lo, s18, v13
	s_delay_alu instid0(VALU_DEP_3) | instskip(SKIP_1) | instid1(VALU_DEP_4)
	v_cmp_eq_u32_e64 s2, s19, v8
	v_cndmask_b32_e64 v13, 0, -1, vcc_lo
	v_cmp_le_u32_e32 vcc_lo, s19, v10
	v_cndmask_b32_e64 v14, 0, -1, vcc_lo
	v_cmp_le_u32_e32 vcc_lo, s18, v7
	;; [unrolled: 2-line block ×3, first 2 shown]
	v_cndmask_b32_e64 v15, 0, -1, vcc_lo
	v_cmp_eq_u32_e32 vcc_lo, s19, v10
	s_delay_alu instid0(VALU_DEP_2) | instskip(SKIP_3) | instid1(VALU_DEP_3)
	v_cndmask_b32_e64 v7, v15, v7, s2
	v_cndmask_b32_e32 v10, v14, v13, vcc_lo
	v_add_co_u32 v13, vcc_lo, v2, 1
	v_add_co_ci_u32_e32 v14, vcc_lo, 0, v9, vcc_lo
	v_cmp_ne_u32_e32 vcc_lo, 0, v10
	s_delay_alu instid0(VALU_DEP_2) | instskip(NEXT) | instid1(VALU_DEP_4)
	v_cndmask_b32_e32 v8, v14, v12, vcc_lo
	v_cndmask_b32_e32 v10, v13, v11, vcc_lo
	v_cmp_ne_u32_e32 vcc_lo, 0, v7
	s_delay_alu instid0(VALU_DEP_2)
	v_dual_cndmask_b32 v7, v2, v10 :: v_dual_cndmask_b32 v8, v9, v8
.LBB0_4:                                ;   in Loop: Header=BB0_2 Depth=1
	s_and_not1_saveexec_b32 s2, s3
	s_cbranch_execz .LBB0_6
; %bb.5:                                ;   in Loop: Header=BB0_2 Depth=1
	v_cvt_f32_u32_e32 v2, s18
	s_sub_i32 s3, 0, s18
	s_delay_alu instid0(VALU_DEP_1) | instskip(SKIP_2) | instid1(VALU_DEP_1)
	v_rcp_iflag_f32_e32 v2, v2
	s_waitcnt_depctr 0xfff
	v_mul_f32_e32 v2, 0x4f7ffffe, v2
	v_cvt_u32_f32_e32 v2, v2
	s_delay_alu instid0(VALU_DEP_1) | instskip(NEXT) | instid1(VALU_DEP_1)
	v_mul_lo_u32 v7, s3, v2
	v_mul_hi_u32 v7, v2, v7
	s_delay_alu instid0(VALU_DEP_1) | instskip(NEXT) | instid1(VALU_DEP_1)
	v_add_nc_u32_e32 v2, v2, v7
	v_mul_hi_u32 v2, v5, v2
	s_delay_alu instid0(VALU_DEP_1) | instskip(SKIP_1) | instid1(VALU_DEP_2)
	v_mul_lo_u32 v7, v2, s18
	v_add_nc_u32_e32 v8, 1, v2
	v_sub_nc_u32_e32 v7, v5, v7
	s_delay_alu instid0(VALU_DEP_1) | instskip(SKIP_1) | instid1(VALU_DEP_2)
	v_subrev_nc_u32_e32 v9, s18, v7
	v_cmp_le_u32_e32 vcc_lo, s18, v7
	v_dual_cndmask_b32 v7, v7, v9 :: v_dual_cndmask_b32 v2, v2, v8
	s_delay_alu instid0(VALU_DEP_1) | instskip(NEXT) | instid1(VALU_DEP_2)
	v_cmp_le_u32_e32 vcc_lo, s18, v7
	v_add_nc_u32_e32 v8, 1, v2
	s_delay_alu instid0(VALU_DEP_1)
	v_dual_cndmask_b32 v7, v2, v8 :: v_dual_mov_b32 v8, v1
.LBB0_6:                                ;   in Loop: Header=BB0_2 Depth=1
	s_or_b32 exec_lo, exec_lo, s2
	s_load_b64 s[2:3], s[12:13], 0x0
	s_delay_alu instid0(VALU_DEP_1) | instskip(NEXT) | instid1(VALU_DEP_2)
	v_mul_lo_u32 v2, v8, s18
	v_mul_lo_u32 v11, v7, s19
	v_mad_u64_u32 v[9:10], null, v7, s18, 0
	s_add_u32 s16, s16, 1
	s_addc_u32 s17, s17, 0
	s_add_u32 s12, s12, 8
	s_addc_u32 s13, s13, 0
	;; [unrolled: 2-line block ×3, first 2 shown]
	s_delay_alu instid0(VALU_DEP_1) | instskip(SKIP_1) | instid1(VALU_DEP_2)
	v_add3_u32 v2, v10, v11, v2
	v_sub_co_u32 v9, vcc_lo, v5, v9
	v_sub_co_ci_u32_e32 v2, vcc_lo, v6, v2, vcc_lo
	s_waitcnt lgkmcnt(0)
	s_delay_alu instid0(VALU_DEP_2) | instskip(NEXT) | instid1(VALU_DEP_2)
	v_mul_lo_u32 v10, s3, v9
	v_mul_lo_u32 v2, s2, v2
	v_mad_u64_u32 v[5:6], null, s2, v9, v[3:4]
	v_cmp_ge_u64_e64 s2, s[16:17], s[6:7]
	s_delay_alu instid0(VALU_DEP_1) | instskip(NEXT) | instid1(VALU_DEP_2)
	s_and_b32 vcc_lo, exec_lo, s2
	v_add3_u32 v4, v10, v6, v2
	s_delay_alu instid0(VALU_DEP_3)
	v_mov_b32_e32 v3, v5
	s_cbranch_vccnz .LBB0_9
; %bb.7:                                ;   in Loop: Header=BB0_2 Depth=1
	v_dual_mov_b32 v5, v7 :: v_dual_mov_b32 v6, v8
	s_branch .LBB0_2
.LBB0_8:
	v_dual_mov_b32 v8, v6 :: v_dual_mov_b32 v7, v5
.LBB0_9:
	s_lshl_b64 s[2:3], s[6:7], 3
	s_delay_alu instid0(SALU_CYCLE_1)
	s_add_u32 s2, s10, s2
	s_addc_u32 s3, s11, s3
	s_load_b64 s[2:3], s[2:3], 0x0
	s_load_b64 s[0:1], s[0:1], 0x20
	s_waitcnt lgkmcnt(0)
	v_mul_lo_u32 v5, s2, v8
	v_mul_lo_u32 v6, s3, v7
	v_mad_u64_u32 v[1:2], null, s2, v7, v[3:4]
	v_mul_hi_u32 v3, 0x1c71c72, v0
	v_cmp_gt_u64_e32 vcc_lo, s[0:1], v[7:8]
	s_delay_alu instid0(VALU_DEP_3) | instskip(NEXT) | instid1(VALU_DEP_3)
	v_add3_u32 v2, v6, v2, v5
	v_mul_u32_u24_e32 v3, 0x90, v3
	s_delay_alu instid0(VALU_DEP_2) | instskip(NEXT) | instid1(VALU_DEP_2)
	v_lshlrev_b64 v[34:35], 3, v[1:2]
	v_sub_nc_u32_e32 v32, v0, v3
	s_and_saveexec_b32 s1, vcc_lo
	s_cbranch_execz .LBB0_13
; %bb.10:
	s_delay_alu instid0(VALU_DEP_1) | instskip(SKIP_2) | instid1(VALU_DEP_1)
	v_lshl_add_u32 v54, v32, 3, 0
	v_mov_b32_e32 v33, 0
	v_add_co_u32 v0, s0, s8, v34
	v_add_co_ci_u32_e64 v1, s0, s9, v35, s0
	s_delay_alu instid0(VALU_DEP_4) | instskip(NEXT) | instid1(VALU_DEP_4)
	v_add_nc_u32_e32 v56, 0x1000, v54
	v_lshlrev_b64 v[2:3], 3, v[32:33]
	v_or_b32_e32 v36, 0x900, v32
	v_dual_mov_b32 v37, v33 :: v_dual_add_nc_u32 v58, 0x2400, v54
	v_add_nc_u32_e32 v55, 0x800, v54
	v_add_nc_u32_e32 v57, 0x1800, v54
	v_add_co_u32 v2, s0, v0, v2
	s_delay_alu instid0(VALU_DEP_1) | instskip(SKIP_1) | instid1(VALU_DEP_3)
	v_add_co_ci_u32_e64 v3, s0, v1, v3, s0
	v_lshlrev_b64 v[36:37], 3, v[36:37]
	v_add_co_u32 v12, s0, 0x1000, v2
	s_delay_alu instid0(VALU_DEP_1) | instskip(SKIP_1) | instid1(VALU_DEP_1)
	v_add_co_ci_u32_e64 v13, s0, 0, v3, s0
	v_add_co_u32 v14, s0, 0x2000, v2
	v_add_co_ci_u32_e64 v15, s0, 0, v3, s0
	v_add_co_u32 v16, s0, 0x3000, v2
	s_delay_alu instid0(VALU_DEP_1) | instskip(SKIP_1) | instid1(VALU_DEP_1)
	v_add_co_ci_u32_e64 v17, s0, 0, v3, s0
	v_add_co_u32 v30, s0, 0x4000, v2
	v_add_co_ci_u32_e64 v31, s0, 0, v3, s0
	;; [unrolled: 5-line block ×3, first 2 shown]
	s_clause 0x3
	global_load_b64 v[4:5], v[2:3], off
	global_load_b64 v[6:7], v[2:3], off offset:1152
	global_load_b64 v[8:9], v[2:3], off offset:2304
	;; [unrolled: 1-line block ×3, first 2 shown]
	v_add_co_u32 v2, s0, 0x6000, v2
	s_delay_alu instid0(VALU_DEP_1)
	v_add_co_ci_u32_e64 v3, s0, 0, v3, s0
	s_clause 0x13
	global_load_b64 v[18:19], v[12:13], off offset:512
	global_load_b64 v[20:21], v[12:13], off offset:1664
	;; [unrolled: 1-line block ×14, first 2 shown]
	global_load_b64 v[36:37], v[36:37], off
	global_load_b64 v[30:31], v[30:31], off offset:3200
	global_load_b64 v[50:51], v[44:45], off offset:2560
	;; [unrolled: 1-line block ×5, first 2 shown]
	v_cmp_eq_u32_e64 s0, 0x8f, v32
	v_add_nc_u32_e32 v59, 0x2c00, v54
	v_add_nc_u32_e32 v60, 0x3400, v54
	;; [unrolled: 1-line block ×7, first 2 shown]
	s_waitcnt vmcnt(22)
	ds_store_2addr_b64 v54, v[4:5], v[6:7] offset1:144
	s_waitcnt vmcnt(20)
	ds_store_2addr_b64 v55, v[8:9], v[10:11] offset0:32 offset1:176
	s_waitcnt vmcnt(18)
	ds_store_2addr_b64 v56, v[18:19], v[20:21] offset0:64 offset1:208
	s_waitcnt vmcnt(16)
	ds_store_2addr_b64 v57, v[22:23], v[12:13] offset0:96 offset1:240
	s_waitcnt vmcnt(14)
	ds_store_2addr_b64 v58, v[24:25], v[26:27] offset1:144
	s_waitcnt vmcnt(12)
	ds_store_2addr_b64 v59, v[14:15], v[28:29] offset0:32 offset1:176
	s_waitcnt vmcnt(10)
	ds_store_2addr_b64 v60, v[38:39], v[40:41] offset0:64 offset1:208
	;; [unrolled: 2-line block ×3, first 2 shown]
	s_waitcnt vmcnt(4)
	ds_store_2addr_b64 v62, v[36:37], v[30:31] offset1:144
	ds_store_2addr_b64 v63, v[46:47], v[48:49] offset0:32 offset1:176
	s_waitcnt vmcnt(2)
	ds_store_2addr_b64 v64, v[50:51], v[44:45] offset0:64 offset1:208
	s_waitcnt vmcnt(0)
	ds_store_2addr_b64 v65, v[52:53], v[2:3] offset0:96 offset1:240
	s_and_saveexec_b32 s2, s0
	s_cbranch_execz .LBB0_12
; %bb.11:
	v_add_co_u32 v0, s0, 0x6000, v0
	s_delay_alu instid0(VALU_DEP_1)
	v_add_co_ci_u32_e64 v1, s0, 0, v1, s0
	v_mov_b32_e32 v32, 0x8f
	global_load_b64 v[0:1], v[0:1], off offset:3072
	s_waitcnt vmcnt(0)
	ds_store_b64 v33, v[0:1] offset:27648
.LBB0_12:
	s_or_b32 exec_lo, exec_lo, s2
.LBB0_13:
	s_delay_alu instid0(SALU_CYCLE_1) | instskip(NEXT) | instid1(VALU_DEP_1)
	s_or_b32 exec_lo, exec_lo, s1
	v_lshlrev_b32_e32 v0, 3, v32
	s_waitcnt lgkmcnt(0)
	s_barrier
	buffer_gl0_inv
	s_add_u32 s1, s4, 0x6bd0
	v_add_nc_u32_e32 v44, 0, v0
	v_sub_nc_u32_e32 v4, 0, v0
	s_addc_u32 s2, s5, 0
	s_mov_b32 s3, exec_lo
                                        ; implicit-def: $vgpr2_vgpr3
	ds_load_b32 v5, v44
	ds_load_b32 v6, v4 offset:27648
	s_waitcnt lgkmcnt(0)
	v_dual_sub_f32 v1, v5, v6 :: v_dual_add_f32 v0, v6, v5
	v_cmpx_ne_u32_e32 0, v32
	s_xor_b32 s3, exec_lo, s3
	s_cbranch_execz .LBB0_15
; %bb.14:
	v_dual_mov_b32 v33, 0 :: v_dual_sub_f32 v8, v5, v6
	s_delay_alu instid0(VALU_DEP_1) | instskip(NEXT) | instid1(VALU_DEP_1)
	v_lshlrev_b64 v[0:1], 3, v[32:33]
	v_add_co_u32 v0, s0, s1, v0
	s_delay_alu instid0(VALU_DEP_1)
	v_add_co_ci_u32_e64 v1, s0, s2, v1, s0
	global_load_b64 v[2:3], v[0:1], off
	ds_load_b32 v0, v4 offset:27652
	ds_load_b32 v1, v44 offset:4
	v_add_f32_e32 v7, v6, v5
	s_waitcnt lgkmcnt(0)
	v_dual_add_f32 v9, v0, v1 :: v_dual_sub_f32 v0, v1, v0
	s_waitcnt vmcnt(0)
	s_delay_alu instid0(VALU_DEP_2) | instskip(NEXT) | instid1(VALU_DEP_2)
	v_fma_f32 v5, -v8, v3, v7
	v_fma_f32 v6, v9, v3, -v0
	v_fma_f32 v10, v8, v3, v7
	v_fma_f32 v1, v9, v3, v0
	s_delay_alu instid0(VALU_DEP_3) | instskip(NEXT) | instid1(VALU_DEP_3)
	v_dual_fmac_f32 v5, v2, v9 :: v_dual_fmac_f32 v6, v8, v2
	v_fma_f32 v0, -v2, v9, v10
	s_delay_alu instid0(VALU_DEP_3)
	v_fmac_f32_e32 v1, v8, v2
	v_dual_mov_b32 v2, v32 :: v_dual_mov_b32 v3, v33
	ds_store_b64 v4, v[5:6] offset:27648
.LBB0_15:
	s_and_not1_saveexec_b32 s0, s3
	s_cbranch_execz .LBB0_17
; %bb.16:
	v_mov_b32_e32 v7, 0
	ds_load_b64 v[2:3], v7 offset:13824
	s_waitcnt lgkmcnt(0)
	v_dual_mul_f32 v6, -2.0, v3 :: v_dual_add_f32 v5, v2, v2
	v_mov_b32_e32 v2, 0
	v_mov_b32_e32 v3, 0
	ds_store_b64 v7, v[5:6] offset:13824
.LBB0_17:
	s_or_b32 exec_lo, exec_lo, s0
	v_lshlrev_b64 v[2:3], 3, v[2:3]
	v_add_nc_u32_e32 v45, 0x2400, v44
	v_add_nc_u32_e32 v47, 0x4800, v44
	;; [unrolled: 1-line block ×5, first 2 shown]
	v_add_co_u32 v2, s0, s1, v2
	s_delay_alu instid0(VALU_DEP_1)
	v_add_co_ci_u32_e64 v3, s0, s2, v3, s0
	s_clause 0x2
	global_load_b64 v[5:6], v[2:3], off offset:1152
	global_load_b64 v[7:8], v[2:3], off offset:2304
	;; [unrolled: 1-line block ×3, first 2 shown]
	v_add_co_u32 v11, s0, 0x1000, v2
	s_delay_alu instid0(VALU_DEP_1)
	v_add_co_ci_u32_e64 v12, s0, 0, v3, s0
	s_clause 0x3
	global_load_b64 v[13:14], v[11:12], off offset:512
	global_load_b64 v[15:16], v[11:12], off offset:1664
	;; [unrolled: 1-line block ×4, first 2 shown]
	v_add_co_u32 v19, s0, 0x2000, v2
	ds_store_b64 v44, v[0:1]
	v_add_co_ci_u32_e64 v20, s0, 0, v3, s0
	ds_load_b64 v[0:1], v44 offset:1152
	ds_load_b64 v[21:22], v4 offset:26496
	v_add_co_u32 v2, s0, 0x3000, v2
	global_load_b64 v[23:24], v[19:20], off offset:1024
	v_add_co_ci_u32_e64 v3, s0, 0, v3, s0
	v_cmp_gt_u32_e64 s0, 0x48, v32
	v_add_nc_u32_e32 v56, 0x1b0, v32
	v_add_nc_u32_e32 v46, 0x3400, v44
	v_add_nc_u32_e32 v48, 0x800, v44
	v_add_nc_u32_e32 v50, 0x2c00, v44
	v_and_b32_e32 v58, 0xff, v32
	v_add_nc_u32_e32 v52, 0x3c00, v44
	v_add_nc_u32_e32 v55, 0x90, v32
	v_add_nc_u32_e32 v54, 0x5000, v44
	s_delay_alu instid0(VALU_DEP_4)
	v_mul_lo_u16 v68, 0xab, v58
	v_mul_lo_u16 v58, v58, 57
	s_waitcnt lgkmcnt(0)
	v_add_f32_e32 v25, v0, v21
	v_add_f32_e32 v26, v22, v1
	v_dual_sub_f32 v27, v0, v21 :: v_dual_sub_f32 v0, v1, v22
	v_lshrrev_b16 v58, 11, v58
	s_waitcnt vmcnt(7)
	s_delay_alu instid0(VALU_DEP_2) | instskip(NEXT) | instid1(VALU_DEP_3)
	v_fma_f32 v28, v27, v6, v25
	v_fma_f32 v1, v26, v6, v0
	v_fma_f32 v21, -v27, v6, v25
	v_fma_f32 v22, v26, v6, -v0
	s_delay_alu instid0(VALU_DEP_4) | instskip(NEXT) | instid1(VALU_DEP_4)
	v_fma_f32 v0, -v5, v26, v28
	v_fmac_f32_e32 v1, v27, v5
	s_delay_alu instid0(VALU_DEP_3)
	v_dual_fmac_f32 v21, v5, v26 :: v_dual_fmac_f32 v22, v27, v5
	ds_store_b64 v44, v[0:1] offset:1152
	ds_store_b64 v4, v[21:22] offset:26496
	ds_load_b64 v[0:1], v44 offset:2304
	ds_load_b64 v[5:6], v4 offset:25344
	global_load_b64 v[21:22], v[19:20], off offset:2176
	s_waitcnt lgkmcnt(0)
	v_add_f32_e32 v26, v6, v1
	v_sub_f32_e32 v27, v0, v5
	v_dual_add_f32 v25, v0, v5 :: v_dual_sub_f32 v0, v1, v6
	s_waitcnt vmcnt(7)
	s_delay_alu instid0(VALU_DEP_1) | instskip(SKIP_1) | instid1(VALU_DEP_2)
	v_fma_f32 v6, v26, v8, -v0
	v_fma_f32 v1, v26, v8, v0
	v_fmac_f32_e32 v6, v27, v7
	v_fma_f32 v28, v27, v8, v25
	v_fma_f32 v5, -v27, v8, v25
	s_delay_alu instid0(VALU_DEP_4) | instskip(NEXT) | instid1(VALU_DEP_3)
	v_fmac_f32_e32 v1, v27, v7
	v_fma_f32 v0, -v7, v26, v28
	s_delay_alu instid0(VALU_DEP_3)
	v_fmac_f32_e32 v5, v7, v26
	ds_store_b64 v44, v[0:1] offset:2304
	ds_store_b64 v4, v[5:6] offset:25344
	ds_load_b64 v[0:1], v44 offset:3456
	ds_load_b64 v[5:6], v4 offset:24192
	global_load_b64 v[7:8], v[19:20], off offset:3328
	s_waitcnt lgkmcnt(0)
	v_add_f32_e32 v20, v6, v1
	v_add_f32_e32 v19, v0, v5
	v_dual_sub_f32 v25, v0, v5 :: v_dual_sub_f32 v0, v1, v6
	s_waitcnt vmcnt(7)
	s_delay_alu instid0(VALU_DEP_1) | instskip(NEXT) | instid1(VALU_DEP_2)
	v_fma_f32 v26, v25, v10, v19
	v_fma_f32 v1, v20, v10, v0
	v_fma_f32 v5, -v25, v10, v19
	v_fma_f32 v6, v20, v10, -v0
	s_delay_alu instid0(VALU_DEP_4) | instskip(NEXT) | instid1(VALU_DEP_4)
	v_fma_f32 v0, -v9, v20, v26
	v_fmac_f32_e32 v1, v25, v9
	s_delay_alu instid0(VALU_DEP_4) | instskip(NEXT) | instid1(VALU_DEP_4)
	v_fmac_f32_e32 v5, v9, v20
	v_fmac_f32_e32 v6, v25, v9
	ds_store_b64 v44, v[0:1] offset:3456
	ds_store_b64 v4, v[5:6] offset:24192
	ds_load_b64 v[0:1], v44 offset:4608
	ds_load_b64 v[5:6], v4 offset:23040
	global_load_b64 v[2:3], v[2:3], off offset:384
	s_waitcnt lgkmcnt(0)
	v_add_f32_e32 v9, v0, v5
	v_add_f32_e32 v10, v6, v1
	v_dual_sub_f32 v19, v0, v5 :: v_dual_sub_f32 v0, v1, v6
	s_waitcnt vmcnt(7)
	s_delay_alu instid0(VALU_DEP_1) | instskip(NEXT) | instid1(VALU_DEP_2)
	v_fma_f32 v20, v19, v14, v9
	v_fma_f32 v1, v10, v14, v0
	v_fma_f32 v5, -v19, v14, v9
	v_fma_f32 v6, v10, v14, -v0
	s_delay_alu instid0(VALU_DEP_4) | instskip(NEXT) | instid1(VALU_DEP_4)
	v_fma_f32 v0, -v13, v10, v20
	v_fmac_f32_e32 v1, v19, v13
	s_delay_alu instid0(VALU_DEP_3)
	v_dual_fmac_f32 v5, v13, v10 :: v_dual_fmac_f32 v6, v19, v13
	ds_store_b64 v44, v[0:1] offset:4608
	ds_store_b64 v4, v[5:6] offset:23040
	ds_load_b64 v[0:1], v44 offset:5760
	ds_load_b64 v[5:6], v4 offset:21888
	s_waitcnt lgkmcnt(0)
	v_add_f32_e32 v9, v0, v5
	v_add_f32_e32 v10, v6, v1
	v_dual_sub_f32 v13, v0, v5 :: v_dual_sub_f32 v0, v1, v6
	s_waitcnt vmcnt(6)
	s_delay_alu instid0(VALU_DEP_1) | instskip(NEXT) | instid1(VALU_DEP_2)
	v_fma_f32 v14, v13, v16, v9
	v_fma_f32 v1, v10, v16, v0
	v_fma_f32 v5, -v13, v16, v9
	v_fma_f32 v6, v10, v16, -v0
	s_delay_alu instid0(VALU_DEP_4) | instskip(NEXT) | instid1(VALU_DEP_4)
	v_fma_f32 v0, -v15, v10, v14
	v_fmac_f32_e32 v1, v13, v15
	s_delay_alu instid0(VALU_DEP_3)
	v_dual_fmac_f32 v5, v15, v10 :: v_dual_fmac_f32 v6, v13, v15
	ds_store_b64 v44, v[0:1] offset:5760
	ds_store_b64 v4, v[5:6] offset:21888
	ds_load_b64 v[0:1], v44 offset:6912
	ds_load_b64 v[5:6], v4 offset:20736
	s_waitcnt lgkmcnt(0)
	v_add_f32_e32 v9, v0, v5
	v_add_f32_e32 v10, v6, v1
	v_dual_sub_f32 v13, v0, v5 :: v_dual_sub_f32 v0, v1, v6
	s_waitcnt vmcnt(5)
	s_delay_alu instid0(VALU_DEP_1) | instskip(NEXT) | instid1(VALU_DEP_2)
	v_fma_f32 v14, v13, v18, v9
	v_fma_f32 v1, v10, v18, v0
	v_fma_f32 v5, -v13, v18, v9
	v_fma_f32 v6, v10, v18, -v0
	s_delay_alu instid0(VALU_DEP_4) | instskip(NEXT) | instid1(VALU_DEP_4)
	v_fma_f32 v0, -v17, v10, v14
	v_fmac_f32_e32 v1, v13, v17
	s_delay_alu instid0(VALU_DEP_4) | instskip(NEXT) | instid1(VALU_DEP_4)
	v_fmac_f32_e32 v5, v17, v10
	v_fmac_f32_e32 v6, v13, v17
	ds_store_b64 v44, v[0:1] offset:6912
	ds_store_b64 v4, v[5:6] offset:20736
	ds_load_b64 v[0:1], v44 offset:8064
	ds_load_b64 v[5:6], v4 offset:19584
	s_waitcnt lgkmcnt(0)
	v_add_f32_e32 v9, v0, v5
	v_add_f32_e32 v10, v6, v1
	v_dual_sub_f32 v13, v0, v5 :: v_dual_sub_f32 v0, v1, v6
	s_waitcnt vmcnt(4)
	s_delay_alu instid0(VALU_DEP_1) | instskip(NEXT) | instid1(VALU_DEP_2)
	v_fma_f32 v14, v13, v12, v9
	v_fma_f32 v1, v10, v12, v0
	v_fma_f32 v5, -v13, v12, v9
	v_fma_f32 v6, v10, v12, -v0
	s_delay_alu instid0(VALU_DEP_4) | instskip(NEXT) | instid1(VALU_DEP_4)
	v_fma_f32 v0, -v11, v10, v14
	v_fmac_f32_e32 v1, v13, v11
	s_delay_alu instid0(VALU_DEP_3)
	v_dual_fmac_f32 v5, v11, v10 :: v_dual_fmac_f32 v6, v13, v11
	ds_store_b64 v44, v[0:1] offset:8064
	ds_store_b64 v4, v[5:6] offset:19584
	ds_load_b64 v[0:1], v44 offset:9216
	ds_load_b64 v[5:6], v4 offset:18432
	s_waitcnt lgkmcnt(0)
	v_add_f32_e32 v9, v0, v5
	v_add_f32_e32 v10, v6, v1
	v_dual_sub_f32 v11, v0, v5 :: v_dual_sub_f32 v0, v1, v6
	s_waitcnt vmcnt(3)
	s_delay_alu instid0(VALU_DEP_1) | instskip(NEXT) | instid1(VALU_DEP_2)
	v_fma_f32 v12, v11, v24, v9
	v_fma_f32 v1, v10, v24, v0
	v_fma_f32 v5, -v11, v24, v9
	v_fma_f32 v6, v10, v24, -v0
	v_mul_u32_u24_e32 v24, 6, v32
	v_fma_f32 v0, -v23, v10, v12
	v_fmac_f32_e32 v1, v11, v23
	v_fmac_f32_e32 v5, v23, v10
	;; [unrolled: 1-line block ×3, first 2 shown]
	ds_store_b64 v44, v[0:1] offset:9216
	ds_store_b64 v4, v[5:6] offset:18432
	ds_load_b64 v[0:1], v44 offset:10368
	ds_load_b64 v[5:6], v4 offset:17280
	v_lshl_add_u32 v73, v24, 3, 0
	s_delay_alu instid0(VALU_DEP_1)
	v_add_nc_u32_e32 v94, 0x1b10, v73
	v_add_nc_u32_e32 v100, 0x5110, v73
	;; [unrolled: 1-line block ×3, first 2 shown]
	s_waitcnt lgkmcnt(0)
	v_add_f32_e32 v10, v6, v1
	v_add_f32_e32 v9, v0, v5
	v_dual_sub_f32 v11, v0, v5 :: v_dual_sub_f32 v0, v1, v6
	s_waitcnt vmcnt(2)
	s_delay_alu instid0(VALU_DEP_1) | instskip(NEXT) | instid1(VALU_DEP_2)
	v_fma_f32 v12, v11, v22, v9
	v_fma_f32 v1, v10, v22, v0
	v_fma_f32 v5, -v11, v22, v9
	v_fma_f32 v6, v10, v22, -v0
	s_delay_alu instid0(VALU_DEP_4) | instskip(NEXT) | instid1(VALU_DEP_4)
	v_fma_f32 v0, -v21, v10, v12
	v_fmac_f32_e32 v1, v11, v21
	s_delay_alu instid0(VALU_DEP_3)
	v_dual_fmac_f32 v5, v21, v10 :: v_dual_fmac_f32 v6, v11, v21
	ds_store_b64 v44, v[0:1] offset:10368
	ds_store_b64 v4, v[5:6] offset:17280
	ds_load_b64 v[0:1], v44 offset:11520
	ds_load_b64 v[5:6], v4 offset:16128
	s_waitcnt lgkmcnt(0)
	v_add_f32_e32 v9, v0, v5
	v_add_f32_e32 v10, v6, v1
	v_dual_sub_f32 v11, v0, v5 :: v_dual_sub_f32 v0, v1, v6
	s_waitcnt vmcnt(1)
	s_delay_alu instid0(VALU_DEP_1) | instskip(NEXT) | instid1(VALU_DEP_2)
	v_fma_f32 v12, v11, v8, v9
	v_fma_f32 v1, v10, v8, v0
	v_fma_f32 v5, -v11, v8, v9
	v_fma_f32 v6, v10, v8, -v0
	s_delay_alu instid0(VALU_DEP_4) | instskip(NEXT) | instid1(VALU_DEP_4)
	v_fma_f32 v0, -v7, v10, v12
	v_fmac_f32_e32 v1, v11, v7
	s_delay_alu instid0(VALU_DEP_4) | instskip(NEXT) | instid1(VALU_DEP_4)
	v_fmac_f32_e32 v5, v7, v10
	v_fmac_f32_e32 v6, v11, v7
	ds_store_b64 v44, v[0:1] offset:11520
	ds_store_b64 v4, v[5:6] offset:16128
	ds_load_b64 v[0:1], v44 offset:12672
	ds_load_b64 v[5:6], v4 offset:14976
	s_waitcnt lgkmcnt(0)
	v_add_f32_e32 v8, v6, v1
	v_add_f32_e32 v7, v0, v5
	v_dual_sub_f32 v9, v0, v5 :: v_dual_sub_f32 v0, v1, v6
	s_waitcnt vmcnt(0)
	s_delay_alu instid0(VALU_DEP_1) | instskip(NEXT) | instid1(VALU_DEP_2)
	v_fma_f32 v10, v9, v3, v7
	v_fma_f32 v1, v8, v3, v0
	v_fma_f32 v5, -v9, v3, v7
	v_fma_f32 v6, v8, v3, -v0
	s_delay_alu instid0(VALU_DEP_4) | instskip(NEXT) | instid1(VALU_DEP_4)
	v_fma_f32 v0, -v2, v8, v10
	v_fmac_f32_e32 v1, v9, v2
	s_delay_alu instid0(VALU_DEP_3)
	v_dual_fmac_f32 v5, v2, v8 :: v_dual_fmac_f32 v6, v9, v2
	ds_store_b64 v44, v[0:1] offset:12672
	ds_store_b64 v4, v[5:6] offset:14976
	s_waitcnt lgkmcnt(0)
	s_barrier
	buffer_gl0_inv
	s_barrier
	buffer_gl0_inv
	ds_load_2addr_b64 v[0:3], v44 offset1:144
	ds_load_2addr_b64 v[4:7], v45 offset1:144
	;; [unrolled: 1-line block ×3, first 2 shown]
	ds_load_2addr_b64 v[12:15], v33 offset0:64 offset1:208
	ds_load_2addr_b64 v[16:19], v46 offset0:64 offset1:208
	;; [unrolled: 1-line block ×3, first 2 shown]
	v_add_nc_u32_e32 v57, 0x120, v32
	s_waitcnt lgkmcnt(4)
	v_dual_add_f32 v78, v2, v6 :: v_dual_and_b32 v59, 0xffff, v55
	v_add_nc_u32_e32 v49, 0x1800, v44
	s_waitcnt lgkmcnt(3)
	v_add_f32_e32 v79, v6, v10
	v_sub_f32_e32 v6, v6, v10
	v_add_f32_e32 v70, v4, v8
	v_add_f32_e32 v10, v78, v10
	ds_load_2addr_b64 v[24:27], v48 offset0:32 offset1:176
	ds_load_2addr_b64 v[28:31], v49 offset0:96 offset1:240
	ds_load_2addr_b64 v[36:39], v50 offset0:32 offset1:176
	ds_load_2addr_b64 v[40:43], v52 offset0:96 offset1:240
	ds_load_2addr_b64 v[60:63], v54 offset0:32 offset1:176
	ds_load_2addr_b64 v[64:67], v53 offset0:96 offset1:240
	v_add_f32_e32 v69, v0, v4
	s_waitcnt lgkmcnt(7)
	v_dual_sub_f32 v71, v5, v9 :: v_dual_add_f32 v74, v12, v16
	v_add_f32_e32 v72, v1, v5
	v_dual_sub_f32 v4, v4, v8 :: v_dual_add_f32 v77, v13, v17
	v_sub_f32_e32 v80, v7, v11
	s_waitcnt lgkmcnt(6)
	v_dual_add_f32 v82, v14, v18 :: v_dual_add_f32 v75, v16, v20
	v_dual_add_f32 v5, v5, v9 :: v_dual_sub_f32 v16, v16, v20
	v_sub_f32_e32 v76, v17, v21
	v_add_f32_e32 v17, v17, v21
	v_dual_add_f32 v83, v18, v22 :: v_dual_sub_f32 v84, v19, v23
	s_waitcnt lgkmcnt(3)
	v_dual_add_f32 v85, v15, v19 :: v_dual_add_f32 v86, v24, v36
	s_waitcnt lgkmcnt(2)
	v_dual_add_f32 v78, v29, v41 :: v_dual_add_f32 v81, v3, v7
	v_dual_add_f32 v8, v69, v8 :: v_dual_add_f32 v7, v7, v11
	v_dual_add_f32 v20, v74, v20 :: v_dual_add_f32 v19, v19, v23
	s_delay_alu instid0(VALU_DEP_3)
	v_add_f32_e32 v11, v81, v11
	v_add_f32_e32 v81, v26, v38
	v_sub_f32_e32 v18, v18, v22
	s_waitcnt lgkmcnt(1)
	v_sub_f32_e32 v88, v37, v61
	v_add_f32_e32 v89, v25, v37
	v_dual_add_f32 v37, v37, v61 :: v_dual_add_f32 v86, v86, v60
	s_waitcnt lgkmcnt(0)
	v_dual_add_f32 v9, v72, v9 :: v_dual_sub_f32 v92, v43, v67
	v_dual_add_f32 v69, v40, v64 :: v_dual_add_f32 v22, v82, v22
	v_add_f32_e32 v74, v38, v62
	v_dual_add_f32 v82, v27, v39 :: v_dual_add_f32 v87, v36, v60
	v_sub_f32_e32 v36, v36, v60
	v_sub_f32_e32 v38, v38, v62
	v_dual_add_f32 v81, v81, v62 :: v_dual_add_f32 v62, v31, v43
	v_lshrrev_b16 v60, 10, v68
	v_fma_f32 v68, -0.5, v75, v12
	v_dual_add_f32 v43, v43, v67 :: v_dual_add_f32 v90, v28, v40
	v_dual_add_f32 v23, v85, v23 :: v_dual_sub_f32 v40, v40, v64
	v_add_f32_e32 v85, v30, v42
	v_add_f32_e32 v91, v42, v66
	s_delay_alu instid0(VALU_DEP_4)
	v_dual_sub_f32 v42, v42, v66 :: v_dual_fmac_f32 v31, -0.5, v43
	v_add_f32_e32 v21, v77, v21
	v_sub_f32_e32 v77, v39, v63
	v_add_f32_e32 v39, v39, v63
	v_add_f32_e32 v82, v82, v63
	v_mul_lo_u16 v63, v60, 6
	v_fma_f32 v83, -0.5, v83, v14
	v_fma_f32 v2, -0.5, v79, v2
	v_fmac_f32_e32 v15, -0.5, v19
	v_add_f32_e32 v19, v90, v64
	v_add_f32_e32 v64, v78, v65
	v_add_nc_u32_e32 v78, 0x3600, v73
	v_fma_f32 v26, -0.5, v74, v26
	v_fmamk_f32 v97, v42, 0x3f5db3d7, v31
	v_dual_fmac_f32 v31, 0xbf5db3d7, v42 :: v_dual_sub_f32 v72, v41, v65
	v_add_f32_e32 v41, v41, v65
	v_fmac_f32_e32 v3, -0.5, v7
	v_fma_f32 v75, -0.5, v17, v13
	s_delay_alu instid0(VALU_DEP_4) | instskip(SKIP_1) | instid1(VALU_DEP_4)
	v_dual_mul_f32 v98, -0.5, v31 :: v_dual_add_f32 v65, v85, v66
	v_add_f32_e32 v66, v62, v67
	v_fmamk_f32 v74, v6, 0x3f5db3d7, v3
	v_fmamk_f32 v67, v18, 0x3f5db3d7, v15
	v_fmac_f32_e32 v15, 0xbf5db3d7, v18
	v_sub_nc_u16 v18, v32, v63
	v_fma_f32 v42, -0.5, v5, v1
	v_add_nc_u32_e32 v93, 0x1b00, v73
	s_delay_alu instid0(VALU_DEP_4) | instskip(NEXT) | instid1(VALU_DEP_4)
	v_dual_mul_f32 v90, -0.5, v15 :: v_dual_add_nc_u32 v95, 0x1b20, v73
	v_and_b32_e32 v63, 0xff, v18
	v_fma_f32 v18, -0.5, v69, v28
	v_fma_f32 v28, -0.5, v41, v29
	v_add_nc_u32_e32 v85, 0x3610, v73
	v_fma_f32 v41, -0.5, v70, v0
	v_add_f32_e32 v89, v89, v61
	v_dual_add_f32 v0, v8, v20 :: v_dual_and_b32 v61, 0xffff, v57
	v_fma_f32 v70, -0.5, v37, v25
	v_fmac_f32_e32 v27, -0.5, v39
	v_add_f32_e32 v1, v9, v21
	v_sub_f32_e32 v5, v9, v21
	v_fmamk_f32 v21, v72, 0xbf5db3d7, v18
	v_dual_fmac_f32 v18, 0x3f5db3d7, v72 :: v_dual_fmamk_f32 v39, v16, 0x3f5db3d7, v75
	v_fmamk_f32 v25, v4, 0x3f5db3d7, v42
	v_fmac_f32_e32 v42, 0xbf5db3d7, v4
	v_fma_f32 v29, -0.5, v91, v30
	v_sub_f32_e32 v4, v8, v20
	v_fmamk_f32 v20, v84, 0xbf5db3d7, v83
	v_sub_f32_e32 v8, v10, v22
	v_dual_add_f32 v14, v81, v65 :: v_dual_fmac_f32 v3, 0xbf5db3d7, v6
	v_add_f32_e32 v6, v10, v22
	v_fmamk_f32 v22, v40, 0x3f5db3d7, v28
	v_dual_fmac_f32 v28, 0xbf5db3d7, v40 :: v_dual_mul_f32 v91, 0xbf5db3d7, v31
	v_fmamk_f32 v72, v77, 0xbf5db3d7, v26
	v_add_f32_e32 v10, v86, v19
	v_mul_u32_u24_e32 v31, 5, v63
	v_fmac_f32_e32 v75, 0xbf5db3d7, v16
	v_fma_f32 v69, -0.5, v87, v24
	v_dual_fmamk_f32 v24, v71, 0xbf5db3d7, v41 :: v_dual_fmamk_f32 v37, v76, 0xbf5db3d7, v68
	v_fmac_f32_e32 v68, 0x3f5db3d7, v76
	v_fmac_f32_e32 v26, 0x3f5db3d7, v77
	v_dual_sub_f32 v16, v81, v65 :: v_dual_fmamk_f32 v77, v38, 0x3f5db3d7, v27
	v_dual_fmac_f32 v27, 0xbf5db3d7, v38 :: v_dual_mul_f32 v38, 0xbf5db3d7, v75
	v_mul_u32_u24_e32 v62, 0xaaab, v59
	v_dual_sub_f32 v9, v11, v23 :: v_dual_fmamk_f32 v76, v88, 0xbf5db3d7, v69
	v_mul_f32_e32 v40, 0.5, v67
	v_add_f32_e32 v7, v11, v23
	v_dual_mul_f32 v23, 0xbf5db3d7, v39 :: v_dual_fmac_f32 v38, -0.5, v68
	v_fmamk_f32 v79, v36, 0x3f5db3d7, v70
	v_dual_fmac_f32 v70, 0xbf5db3d7, v36 :: v_dual_mul_f32 v43, 0xbf5db3d7, v15
	v_mul_f32_e32 v36, 0.5, v39
	v_lshrrev_b32_e32 v62, 18, v62
	v_fmac_f32_e32 v41, 0x3f5db3d7, v71
	v_fmamk_f32 v71, v80, 0xbf5db3d7, v2
	v_dual_fmac_f32 v2, 0x3f5db3d7, v80 :: v_dual_fmac_f32 v23, 0.5, v37
	v_fmac_f32_e32 v36, 0x3f5db3d7, v37
	v_mul_f32_e32 v37, 0xbf5db3d7, v67
	v_mul_f32_e32 v65, 0xbf5db3d7, v22
	v_mul_lo_u16 v12, v62, 6
	v_dual_mul_f32 v67, 0xbf5db3d7, v28 :: v_dual_lshlrev_b32 v80, 3, v31
	s_delay_alu instid0(VALU_DEP_4)
	v_fmac_f32_e32 v37, 0.5, v20
	v_add_f32_e32 v15, v82, v66
	v_sub_f32_e32 v17, v82, v66
	v_mul_f32_e32 v66, 0.5, v22
	v_mul_f32_e32 v82, 0xbf5db3d7, v97
	v_fmac_f32_e32 v83, 0x3f5db3d7, v84
	v_fmac_f32_e32 v65, 0.5, v21
	v_mul_f32_e32 v39, -0.5, v75
	v_add_nc_u32_e32 v99, 0x5100, v73
	v_sub_nc_u16 v30, v55, v12
	v_dual_sub_f32 v12, v86, v19 :: v_dual_fmamk_f32 v19, v92, 0xbf5db3d7, v29
	v_dual_fmac_f32 v66, 0x3f5db3d7, v21 :: v_dual_fmac_f32 v69, 0x3f5db3d7, v88
	v_fmac_f32_e32 v90, 0x3f5db3d7, v83
	v_fmac_f32_e32 v43, -0.5, v83
	v_fmac_f32_e32 v29, 0x3f5db3d7, v92
	v_fmac_f32_e32 v67, -0.5, v18
	v_fmac_f32_e32 v39, 0x3f5db3d7, v68
	v_dual_mul_f32 v68, -0.5, v28 :: v_dual_mul_f32 v83, 0.5, v97
	v_fmac_f32_e32 v40, 0x3f5db3d7, v20
	v_dual_sub_f32 v20, v24, v23 :: v_dual_sub_f32 v21, v25, v36
	s_delay_alu instid0(VALU_DEP_3)
	v_fmac_f32_e32 v68, 0x3f5db3d7, v18
	v_add_f32_e32 v18, v24, v23
	v_sub_f32_e32 v24, v41, v38
	v_dual_add_f32 v11, v89, v64 :: v_dual_fmac_f32 v82, 0.5, v19
	v_fmac_f32_e32 v83, 0x3f5db3d7, v19
	v_dual_add_f32 v19, v25, v36 :: v_dual_add_f32 v36, v2, v43
	v_dual_sub_f32 v13, v89, v64 :: v_dual_fmac_f32 v98, 0x3f5db3d7, v29
	v_dual_fmac_f32 v91, -0.5, v29 :: v_dual_and_b32 v64, 0xffff, v30
	v_dual_add_f32 v22, v41, v38 :: v_dual_add_f32 v29, v74, v40
	v_dual_sub_f32 v31, v74, v40 :: v_dual_add_f32 v40, v69, v67
	v_add_f32_e32 v23, v42, v39
	v_sub_f32_e32 v25, v42, v39
	v_dual_sub_f32 v2, v2, v43 :: v_dual_add_f32 v39, v79, v66
	v_add_f32_e32 v41, v70, v68
	v_dual_sub_f32 v43, v79, v66 :: v_dual_sub_f32 v66, v70, v68
	v_add_f32_e32 v70, v27, v98
	v_add_f32_e32 v28, v71, v37
	v_sub_f32_e32 v30, v71, v37
	v_add_f32_e32 v37, v3, v90
	v_dual_add_f32 v68, v77, v83 :: v_dual_add_nc_u32 v75, 0x5120, v73
	v_mul_u32_u24_e32 v81, 5, v64
	s_barrier
	buffer_gl0_inv
	v_dual_sub_f32 v3, v3, v90 :: v_dual_add_f32 v38, v76, v65
	v_dual_sub_f32 v42, v76, v65 :: v_dual_sub_f32 v65, v69, v67
	v_add_f32_e32 v67, v72, v82
	v_dual_sub_f32 v71, v72, v82 :: v_dual_sub_f32 v72, v77, v83
	v_dual_sub_f32 v27, v27, v98 :: v_dual_lshlrev_b32 v64, 3, v64
	v_add_f32_e32 v69, v26, v91
	v_sub_f32_e32 v26, v26, v91
	ds_store_2addr_b64 v73, v[0:1], v[18:19] offset1:1
	ds_store_2addr_b64 v73, v[22:23], v[4:5] offset0:2 offset1:3
	ds_store_2addr_b64 v73, v[20:21], v[24:25] offset0:4 offset1:5
	ds_store_2addr_b64 v93, v[6:7], v[28:29] offset1:1
	ds_store_2addr_b64 v94, v[36:37], v[8:9] offset1:1
	;; [unrolled: 1-line block ×9, first 2 shown]
	s_waitcnt lgkmcnt(0)
	s_barrier
	buffer_gl0_inv
	s_clause 0x1
	global_load_b128 v[8:11], v80, s[4:5]
	global_load_b128 v[24:27], v80, s[4:5] offset:16
	v_and_b32_e32 v69, 0xffff, v56
	v_lshlrev_b32_e32 v0, 3, v81
	v_mul_u32_u24_e32 v1, 0xaaab, v61
	v_mul_u32_u24_e32 v61, 0xe38f, v61
	;; [unrolled: 1-line block ×4, first 2 shown]
	s_clause 0x1
	global_load_b128 v[28:31], v0, s[4:5]
	global_load_b128 v[20:23], v0, s[4:5] offset:16
	v_lshrrev_b32_e32 v67, 18, v1
	v_mul_u32_u24_e32 v73, 0xe38f, v69
	v_lshrrev_b32_e32 v68, 18, v2
	v_mul_lo_u16 v78, v58, 36
	v_lshrrev_b32_e32 v59, 21, v59
	v_mul_lo_u16 v1, v67, 6
	v_mul_u32_u24_e32 v85, 0x120, v62
	v_mul_lo_u16 v2, v68, 6
	v_sub_nc_u16 v62, v32, v78
	v_mul_lo_u16 v78, v59, 36
	v_sub_nc_u16 v1, v57, v1
	v_add3_u32 v85, 0, v85, v64
	v_sub_nc_u16 v2, v56, v2
	v_and_b32_e32 v62, 0xff, v62
	v_sub_nc_u16 v78, v55, v78
	v_and_b32_e32 v66, 0xffff, v1
	v_mul_u32_u24_e32 v68, 0x120, v68
	v_and_b32_e32 v65, 0xffff, v2
	v_mul_u32_u24_e32 v88, 5, v62
	v_mul_u32_u24_e32 v67, 0x120, v67
	;; [unrolled: 1-line block ×3, first 2 shown]
	v_lshlrev_b32_e32 v66, 3, v66
	v_mul_u32_u24_e32 v2, 5, v65
	v_mul_u32_u24_e32 v59, 0x6c0, v59
	v_and_b32_e32 v58, 0xffff, v58
	v_lshlrev_b32_e32 v36, 3, v1
	v_add3_u32 v94, 0, v67, v66
	v_lshlrev_b32_e32 v37, 3, v2
	s_clause 0x7
	global_load_b128 v[16:19], v36, s[4:5]
	global_load_b128 v[12:15], v37, s[4:5]
	global_load_b64 v[42:43], v80, s[4:5] offset:32
	global_load_b64 v[40:41], v0, s[4:5] offset:32
	global_load_b128 v[4:7], v36, s[4:5] offset:16
	global_load_b128 v[0:3], v37, s[4:5] offset:16
	global_load_b64 v[38:39], v36, s[4:5] offset:32
	global_load_b64 v[36:37], v37, s[4:5] offset:32
	v_and_b32_e32 v77, 0xffff, v60
	v_lshrrev_b32_e32 v60, 21, v61
	v_lshrrev_b32_e32 v61, 21, v73
	ds_load_2addr_b64 v[73:76], v45 offset1:144
	ds_load_2addr_b64 v[69:72], v33 offset0:64 offset1:208
	v_mul_u32_u24_e32 v77, 0x120, v77
	v_mul_lo_u16 v79, v60, 36
	v_lshlrev_b32_e32 v63, 3, v63
	v_mul_lo_u16 v86, v61, 36
	v_mul_u32_u24_e32 v58, 0x6c0, v58
	s_delay_alu instid0(VALU_DEP_4)
	v_sub_nc_u16 v87, v57, v79
	v_and_b32_e32 v57, 0xffff, v78
	v_add3_u32 v89, 0, v77, v63
	ds_load_2addr_b64 v[77:80], v46 offset0:64 offset1:208
	ds_load_2addr_b64 v[81:84], v47 offset1:144
	s_waitcnt vmcnt(11) lgkmcnt(3)
	v_mul_f32_e32 v90, v11, v74
	s_waitcnt lgkmcnt(2)
	v_mul_f32_e32 v63, v9, v70
	v_mul_f32_e32 v9, v9, v69
	s_delay_alu instid0(VALU_DEP_3) | instskip(SKIP_1) | instid1(VALU_DEP_4)
	v_fmac_f32_e32 v90, v10, v73
	v_mul_f32_e32 v11, v11, v73
	v_fmac_f32_e32 v63, v8, v69
	s_delay_alu instid0(VALU_DEP_4)
	v_fma_f32 v69, v8, v70, -v9
	s_waitcnt vmcnt(9)
	v_mul_f32_e32 v73, v72, v29
	v_mul_f32_e32 v8, v71, v29
	v_fma_f32 v70, v10, v74, -v11
	v_mul_f32_e32 v74, v76, v31
	v_mul_f32_e32 v29, v75, v31
	s_delay_alu instid0(VALU_DEP_2)
	v_fmac_f32_e32 v74, v75, v30
	v_fmac_f32_e32 v73, v71, v28
	v_fma_f32 v71, v72, v28, -v8
	ds_load_2addr_b64 v[8:11], v49 offset0:96 offset1:240
	v_fma_f32 v72, v76, v30, -v29
	ds_load_2addr_b64 v[28:31], v50 offset0:32 offset1:176
	s_waitcnt lgkmcnt(3)
	v_mul_f32_e32 v75, v78, v25
	s_waitcnt lgkmcnt(2)
	v_dual_mul_f32 v76, v82, v27 :: v_dual_mul_f32 v25, v77, v25
	s_delay_alu instid0(VALU_DEP_2) | instskip(SKIP_2) | instid1(VALU_DEP_3)
	v_fmac_f32_e32 v75, v77, v24
	v_mul_f32_e32 v27, v81, v27
	s_waitcnt vmcnt(8)
	v_dual_fmac_f32 v76, v81, v26 :: v_dual_mul_f32 v81, v80, v21
	v_fma_f32 v77, v78, v24, -v25
	s_delay_alu instid0(VALU_DEP_3) | instskip(SKIP_1) | instid1(VALU_DEP_4)
	v_fma_f32 v78, v82, v26, -v27
	v_lshlrev_b32_e32 v82, 3, v88
	v_dual_mul_f32 v88, v84, v23 :: v_dual_fmac_f32 v81, v79, v20
	v_mul_f32_e32 v21, v79, v21
	v_mul_f32_e32 v23, v83, v23
	s_waitcnt vmcnt(6) lgkmcnt(1)
	v_mul_f32_e32 v92, v11, v13
	s_waitcnt lgkmcnt(0)
	v_dual_fmac_f32 v88, v83, v22 :: v_dual_mul_f32 v91, v29, v19
	v_fma_f32 v79, v80, v20, -v21
	v_fma_f32 v83, v84, v22, -v23
	ds_load_2addr_b64 v[20:23], v51 offset0:64 offset1:208
	v_mul_f32_e32 v84, v9, v17
	v_mul_f32_e32 v17, v8, v17
	;; [unrolled: 1-line block ×4, first 2 shown]
	v_fmac_f32_e32 v92, v10, v12
	v_fmac_f32_e32 v84, v8, v16
	v_fma_f32 v93, v9, v16, -v17
	v_fmac_f32_e32 v91, v28, v18
	v_fma_f32 v28, v29, v18, -v19
	ds_load_2addr_b64 v[16:19], v52 offset0:96 offset1:240
	v_fma_f32 v29, v11, v12, -v13
	v_mul_f32_e32 v64, v31, v15
	v_mul_f32_e32 v12, v30, v15
	ds_load_2addr_b64 v[8:11], v54 offset0:32 offset1:176
	v_sub_f32_e32 v66, v72, v83
	v_fmac_f32_e32 v64, v30, v14
	v_fma_f32 v30, v31, v14, -v12
	ds_load_2addr_b64 v[12:15], v53 offset0:96 offset1:240
	s_waitcnt vmcnt(4) lgkmcnt(3)
	v_mul_f32_e32 v31, v23, v41
	v_dual_mul_f32 v41, v22, v41 :: v_dual_mul_f32 v24, v20, v43
	s_waitcnt vmcnt(3) lgkmcnt(2)
	s_delay_alu instid0(VALU_DEP_2) | instskip(SKIP_2) | instid1(VALU_DEP_3)
	v_dual_fmac_f32 v31, v22, v40 :: v_dual_mul_f32 v22, v17, v5
	v_lshlrev_b32_e32 v65, 3, v65
	v_mul_f32_e32 v5, v16, v5
	v_fmac_f32_e32 v22, v16, v4
	s_delay_alu instid0(VALU_DEP_3) | instskip(SKIP_1) | instid1(VALU_DEP_4)
	v_add3_u32 v95, 0, v68, v65
	v_mul_f32_e32 v65, v21, v43
	v_fma_f32 v16, v17, v4, -v5
	s_waitcnt vmcnt(2) lgkmcnt(1)
	v_mul_f32_e32 v17, v11, v3
	v_dual_add_f32 v68, v72, v83 :: v_dual_add_f32 v43, v74, v88
	v_fmac_f32_e32 v65, v20, v42
	v_fma_f32 v20, v21, v42, -v24
	ds_load_2addr_b64 v[24:27], v44 offset1:144
	v_fma_f32 v21, v23, v40, -v41
	v_dual_mul_f32 v40, v19, v1 :: v_dual_fmac_f32 v17, v10, v2
	s_delay_alu instid0(VALU_DEP_1)
	v_dual_mul_f32 v23, v9, v7 :: v_dual_fmac_f32 v40, v18, v0
	v_mul_f32_e32 v1, v18, v1
	v_mul_f32_e32 v3, v10, v3
	v_sub_f32_e32 v18, v90, v76
	v_mul_u32_u24_e32 v80, 5, v57
	v_lshlrev_b32_e32 v57, 3, v57
	v_fma_f32 v0, v19, v0, -v1
	s_waitcnt vmcnt(1) lgkmcnt(1)
	v_mul_f32_e32 v1, v13, v39
	v_fma_f32 v2, v11, v2, -v3
	v_mul_f32_e32 v7, v8, v7
	v_add_f32_e32 v11, v90, v76
	s_delay_alu instid0(VALU_DEP_4) | instskip(SKIP_4) | instid1(VALU_DEP_3)
	v_fmac_f32_e32 v1, v12, v38
	s_waitcnt lgkmcnt(0)
	v_dual_add_f32 v67, v27, v72 :: v_dual_add_f32 v10, v24, v90
	v_dual_add_f32 v42, v26, v74 :: v_dual_fmac_f32 v27, -0.5, v68
	v_fma_f32 v26, -0.5, v43, v26
	v_add_f32_e32 v67, v67, v83
	v_add_f32_e32 v83, v22, v1
	v_fmac_f32_e32 v23, v8, v6
	v_fma_f32 v8, v9, v6, -v7
	ds_load_2addr_b64 v[4:7], v48 offset0:32 offset1:176
	s_waitcnt vmcnt(0)
	v_dual_mul_f32 v9, v12, v39 :: v_dual_mul_f32 v12, v15, v37
	v_add_f32_e32 v10, v10, v76
	v_add_f32_e32 v42, v42, v88
	;; [unrolled: 1-line block ×3, first 2 shown]
	s_delay_alu instid0(VALU_DEP_4) | instskip(SKIP_3) | instid1(VALU_DEP_4)
	v_fma_f32 v9, v13, v38, -v9
	v_mul_f32_e32 v13, v14, v37
	v_fmac_f32_e32 v12, v14, v36
	v_add_f32_e32 v14, v25, v70
	v_dual_sub_f32 v37, v77, v20 :: v_dual_sub_f32 v68, v16, v9
	s_delay_alu instid0(VALU_DEP_4) | instskip(SKIP_1) | instid1(VALU_DEP_4)
	v_fma_f32 v3, v15, v36, -v13
	v_dual_sub_f32 v13, v70, v78 :: v_dual_add_f32 v72, v73, v81
	v_dual_add_f32 v14, v14, v78 :: v_dual_add_f32 v19, v63, v75
	v_add_f32_e32 v15, v70, v78
	v_sub_f32_e32 v70, v74, v88
	v_add_f32_e32 v74, v81, v31
	v_dual_sub_f32 v78, v81, v31 :: v_dual_add_f32 v81, v84, v22
	v_dual_add_f32 v31, v72, v31 :: v_dual_sub_f32 v22, v22, v1
	v_add_f32_e32 v19, v19, v65
	v_dual_add_f32 v39, v77, v20 :: v_dual_add_f32 v36, v75, v65
	v_add_f32_e32 v38, v69, v77
	v_dual_fmac_f32 v84, -0.5, v83 :: v_dual_add_f32 v77, v79, v21
	s_delay_alu instid0(VALU_DEP_3)
	v_fmac_f32_e32 v69, -0.5, v39
	s_waitcnt lgkmcnt(0)
	v_add_f32_e32 v39, v5, v28
	v_fmac_f32_e32 v63, -0.5, v36
	v_add_f32_e32 v20, v38, v20
	v_sub_f32_e32 v38, v28, v8
	v_add_f32_e32 v28, v28, v8
	v_add_f32_e32 v72, v93, v16
	;; [unrolled: 1-line block ×3, first 2 shown]
	v_dual_add_f32 v16, v16, v9 :: v_dual_add_f32 v39, v39, v8
	v_add_f32_e32 v8, v92, v40
	v_sub_f32_e32 v83, v0, v3
	v_dual_fmac_f32 v73, -0.5, v74 :: v_dual_add_f32 v74, v6, v64
	v_sub_f32_e32 v41, v75, v65
	v_fma_f32 v43, -0.5, v36, v4
	v_add_f32_e32 v65, v4, v91
	v_fma_f32 v88, -0.5, v28, v5
	v_fmac_f32_e32 v93, -0.5, v16
	v_add_f32_e32 v28, v8, v12
	v_add_f32_e32 v16, v74, v17
	v_dual_add_f32 v4, v42, v31 :: v_dual_fmac_f32 v71, -0.5, v77
	v_sub_f32_e32 v75, v79, v21
	v_add_f32_e32 v21, v76, v21
	v_dual_add_f32 v76, v64, v17 :: v_dual_sub_f32 v77, v30, v2
	v_dual_add_f32 v72, v72, v9 :: v_dual_add_f32 v9, v29, v0
	v_add_f32_e32 v0, v0, v3
	s_delay_alu instid0(VALU_DEP_3)
	v_fma_f32 v6, -0.5, v76, v6
	v_sub_f32_e32 v79, v91, v23
	v_sub_f32_e32 v8, v42, v31
	v_dual_fmamk_f32 v42, v38, 0xbf5db3d7, v43 :: v_dual_add_f32 v23, v65, v23
	v_add_f32_e32 v65, v7, v30
	v_dual_add_f32 v30, v30, v2 :: v_dual_fmac_f32 v29, -0.5, v0
	v_dual_fmamk_f32 v31, v22, 0x3f5db3d7, v93 :: v_dual_sub_f32 v64, v64, v17
	s_delay_alu instid0(VALU_DEP_3) | instskip(NEXT) | instid1(VALU_DEP_3)
	v_add_f32_e32 v17, v65, v2
	v_dual_fmac_f32 v7, -0.5, v30 :: v_dual_add_f32 v30, v9, v3
	s_delay_alu instid0(VALU_DEP_3)
	v_dual_add_f32 v81, v81, v1 :: v_dual_mul_f32 v74, 0.5, v31
	v_add_f32_e32 v1, v40, v12
	v_sub_f32_e32 v40, v40, v12
	v_add_f32_e32 v0, v10, v19
	v_sub_f32_e32 v2, v10, v19
	v_add_f32_e32 v10, v23, v81
	s_delay_alu instid0(VALU_DEP_4) | instskip(SKIP_3) | instid1(VALU_DEP_4)
	v_dual_sub_f32 v12, v23, v81 :: v_dual_fmamk_f32 v23, v40, 0x3f5db3d7, v29
	v_fma_f32 v25, -0.5, v15, v25
	v_fmac_f32_e32 v43, 0x3f5db3d7, v38
	v_fmac_f32_e32 v29, 0xbf5db3d7, v40
	v_mul_f32_e32 v76, 0xbf5db3d7, v23
	v_fmac_f32_e32 v92, -0.5, v1
	v_fma_f32 v24, -0.5, v11, v24
	v_fmamk_f32 v65, v18, 0x3f5db3d7, v25
	v_fmac_f32_e32 v25, 0xbf5db3d7, v18
	v_dual_fmamk_f32 v18, v37, 0xbf5db3d7, v63 :: v_dual_add_f32 v1, v14, v20
	s_delay_alu instid0(VALU_DEP_4)
	v_fmamk_f32 v36, v13, 0xbf5db3d7, v24
	v_dual_fmac_f32 v24, 0x3f5db3d7, v13 :: v_dual_sub_f32 v3, v14, v20
	v_add_f32_e32 v14, v16, v28
	v_sub_f32_e32 v16, v16, v28
	v_fmamk_f32 v20, v78, 0x3f5db3d7, v71
	v_fmac_f32_e32 v71, 0xbf5db3d7, v78
	v_fmac_f32_e32 v63, 0x3f5db3d7, v37
	v_add_f32_e32 v11, v39, v72
	v_dual_sub_f32 v13, v39, v72 :: v_dual_fmamk_f32 v72, v64, 0x3f5db3d7, v7
	s_delay_alu instid0(VALU_DEP_4)
	v_dual_mul_f32 v40, 0xbf5db3d7, v71 :: v_dual_add_f32 v5, v67, v21
	v_sub_f32_e32 v9, v67, v21
	v_fmamk_f32 v21, v68, 0xbf5db3d7, v84
	v_dual_fmac_f32 v84, 0x3f5db3d7, v68 :: v_dual_fmamk_f32 v37, v41, 0x3f5db3d7, v69
	v_fmac_f32_e32 v69, 0xbf5db3d7, v41
	v_mul_f32_e32 v39, 0xbf5db3d7, v20
	s_delay_alu instid0(VALU_DEP_4)
	v_fmac_f32_e32 v74, 0x3f5db3d7, v21
	v_mul_f32_e32 v78, 0.5, v23
	v_mul_f32_e32 v28, 0xbf5db3d7, v37
	v_mul_f32_e32 v38, -0.5, v69
	v_mul_f32_e32 v37, 0.5, v37
	s_barrier
	buffer_gl0_inv
	v_fmac_f32_e32 v28, 0.5, v18
	v_dual_fmac_f32 v38, 0x3f5db3d7, v63 :: v_dual_add_f32 v15, v17, v30
	v_dual_sub_f32 v17, v17, v30 :: v_dual_mul_f32 v30, 0xbf5db3d7, v69
	v_fmamk_f32 v41, v66, 0xbf5db3d7, v26
	v_fmac_f32_e32 v26, 0x3f5db3d7, v66
	v_mul_f32_e32 v69, 0xbf5db3d7, v31
	s_delay_alu instid0(VALU_DEP_4)
	v_dual_fmac_f32 v37, 0x3f5db3d7, v18 :: v_dual_fmac_f32 v30, -0.5, v63
	v_dual_fmac_f32 v93, 0xbf5db3d7, v22 :: v_dual_fmamk_f32 v22, v83, 0xbf5db3d7, v92
	v_fmac_f32_e32 v92, 0x3f5db3d7, v83
	v_fmamk_f32 v19, v75, 0xbf5db3d7, v73
	v_fmac_f32_e32 v73, 0x3f5db3d7, v75
	v_fmamk_f32 v66, v70, 0x3f5db3d7, v27
	v_fmac_f32_e32 v76, 0.5, v22
	v_fmac_f32_e32 v78, 0x3f5db3d7, v22
	v_add_f32_e32 v18, v36, v28
	v_dual_fmac_f32 v40, -0.5, v73 :: v_dual_fmac_f32 v7, 0xbf5db3d7, v64
	v_mul_f32_e32 v64, 0.5, v20
	v_add_f32_e32 v20, v24, v30
	v_sub_f32_e32 v24, v24, v30
	s_delay_alu instid0(VALU_DEP_4) | instskip(SKIP_3) | instid1(VALU_DEP_4)
	v_dual_add_f32 v30, v26, v40 :: v_dual_fmac_f32 v39, 0.5, v19
	v_dual_fmac_f32 v27, 0xbf5db3d7, v70 :: v_dual_fmamk_f32 v70, v77, 0xbf5db3d7, v6
	v_fmac_f32_e32 v6, 0x3f5db3d7, v77
	v_dual_mul_f32 v77, 0xbf5db3d7, v29 :: v_dual_sub_f32 v22, v36, v28
	v_sub_f32_e32 v36, v41, v39
	v_dual_mul_f32 v68, -0.5, v71 :: v_dual_mul_f32 v71, 0xbf5db3d7, v93
	v_fmac_f32_e32 v69, 0.5, v21
	v_fmamk_f32 v67, v79, 0x3f5db3d7, v88
	v_fmac_f32_e32 v77, -0.5, v92
	v_add_f32_e32 v21, v25, v38
	v_fmac_f32_e32 v71, -0.5, v84
	v_sub_f32_e32 v25, v25, v38
	v_add_f32_e32 v28, v41, v39
	v_sub_f32_e32 v26, v26, v40
	v_add_f32_e32 v38, v42, v69
	v_add_f32_e32 v40, v43, v71
	v_dual_sub_f32 v42, v42, v69 :: v_dual_add_f32 v39, v67, v74
	v_sub_f32_e32 v63, v43, v71
	v_sub_f32_e32 v43, v67, v74
	v_add_f32_e32 v67, v6, v77
	v_sub_f32_e32 v6, v6, v77
	v_dual_mul_f32 v75, -0.5, v93 :: v_dual_fmac_f32 v88, 0xbf5db3d7, v79
	v_dual_mul_f32 v79, -0.5, v29 :: v_dual_fmac_f32 v64, 0x3f5db3d7, v19
	s_delay_alu instid0(VALU_DEP_2) | instskip(SKIP_1) | instid1(VALU_DEP_3)
	v_dual_fmac_f32 v68, 0x3f5db3d7, v73 :: v_dual_fmac_f32 v75, 0x3f5db3d7, v84
	v_add_f32_e32 v19, v65, v37
	v_fmac_f32_e32 v79, 0x3f5db3d7, v92
	v_sub_f32_e32 v23, v65, v37
	v_add_f32_e32 v29, v66, v64
	v_add_f32_e32 v31, v27, v68
	;; [unrolled: 1-line block ×3, first 2 shown]
	v_sub_f32_e32 v37, v66, v64
	v_dual_sub_f32 v27, v27, v68 :: v_dual_sub_f32 v64, v88, v75
	v_dual_add_f32 v65, v70, v76 :: v_dual_add_f32 v66, v72, v78
	v_dual_add_f32 v68, v7, v79 :: v_dual_sub_f32 v69, v70, v76
	v_dual_sub_f32 v70, v72, v78 :: v_dual_sub_f32 v7, v7, v79
	ds_store_2addr_b64 v89, v[0:1], v[18:19] offset1:6
	ds_store_2addr_b64 v89, v[20:21], v[2:3] offset0:12 offset1:18
	ds_store_2addr_b64 v89, v[22:23], v[24:25] offset0:24 offset1:30
	ds_store_2addr_b64 v85, v[4:5], v[28:29] offset1:6
	ds_store_2addr_b64 v85, v[30:31], v[8:9] offset0:12 offset1:18
	ds_store_2addr_b64 v85, v[36:37], v[26:27] offset0:24 offset1:30
	;; [unrolled: 3-line block ×4, first 2 shown]
	s_waitcnt lgkmcnt(0)
	s_barrier
	buffer_gl0_inv
	global_load_b128 v[40:43], v82, s[4:5] offset:240
	v_sub_nc_u16 v0, v56, v86
	v_lshlrev_b32_e32 v1, 3, v80
	v_and_b32_e32 v77, 0xffff, v87
	v_lshrrev_b16 v39, 3, v56
	v_mul_u32_u24_e32 v67, 3, v32
	v_and_b32_e32 v81, 0xffff, v0
	global_load_b128 v[63:66], v1, s[4:5] offset:240
	v_mul_u32_u24_e32 v0, 5, v77
	v_mov_b32_e32 v25, 0
	v_and_b32_e32 v71, 0xffff, v39
	v_mul_u32_u24_e32 v2, 5, v81
	v_lshlrev_b32_e32 v39, 3, v67
	v_lshlrev_b32_e32 v0, 3, v0
	v_mul_u32_u24_e32 v85, 0x6c0, v60
	v_lshlrev_b32_e32 v60, 3, v62
	v_lshlrev_b32_e32 v24, 3, v2
	s_clause 0x9
	global_load_b128 v[20:23], v0, s[4:5] offset:240
	global_load_b128 v[16:19], v24, s[4:5] offset:240
	;; [unrolled: 1-line block ×4, first 2 shown]
	global_load_b64 v[36:37], v1, s[4:5] offset:272
	global_load_b64 v[30:31], v0, s[4:5] offset:272
	global_load_b128 v[4:7], v0, s[4:5] offset:256
	global_load_b64 v[28:29], v82, s[4:5] offset:272
	global_load_b128 v[0:3], v24, s[4:5] offset:256
	global_load_b64 v[26:27], v24, s[4:5] offset:272
	v_add_nc_u32_e32 v24, 0xffffffb8, v32
	ds_load_2addr_b64 v[67:70], v33 offset0:64 offset1:208
	v_mul_u32_u24_e32 v86, 0x6c0, v61
	v_add3_u32 v87, 0, v58, v60
	v_lshlrev_b32_e32 v61, 3, v77
	v_cndmask_b32_e64 v38, v24, v55, s0
	v_add3_u32 v88, 0, v59, v57
	v_add_nc_u32_e32 v82, 0x5400, v44
	v_add_nc_u32_e32 v84, 0x5c00, v44
	s_delay_alu instid0(VALU_DEP_4) | instskip(NEXT) | instid1(VALU_DEP_1)
	v_mul_i32_i24_e32 v24, 3, v38
	v_lshlrev_b64 v[75:76], 3, v[24:25]
	v_mul_u32_u24_e32 v24, 0x12f7, v71
	ds_load_2addr_b64 v[71:74], v45 offset1:144
	v_add_co_u32 v79, s0, s4, v75
	s_delay_alu instid0(VALU_DEP_1) | instskip(SKIP_4) | instid1(VALU_DEP_2)
	v_add_co_ci_u32_e64 v80, s0, s5, v76, s0
	ds_load_2addr_b64 v[57:60], v49 offset0:96 offset1:240
	ds_load_2addr_b64 v[75:78], v50 offset0:32 offset1:176
	v_lshrrev_b32_e32 v24, 17, v24
	v_cmp_lt_u32_e64 s0, 0x47, v32
	v_mul_lo_u16 v24, 0xd8, v24
	s_waitcnt vmcnt(11) lgkmcnt(3)
	v_mul_f32_e32 v89, v41, v68
	s_waitcnt lgkmcnt(2)
	v_dual_mul_f32 v41, v41, v67 :: v_dual_mul_f32 v90, v43, v72
	v_mul_f32_e32 v43, v43, v71
	s_delay_alu instid0(VALU_DEP_3) | instskip(NEXT) | instid1(VALU_DEP_3)
	v_fmac_f32_e32 v89, v40, v67
	v_fma_f32 v67, v40, v68, -v41
	s_waitcnt vmcnt(10)
	v_mul_f32_e32 v40, v69, v64
	v_fmac_f32_e32 v90, v42, v71
	v_fma_f32 v68, v42, v72, -v43
	v_mul_f32_e32 v71, v70, v64
	v_add3_u32 v72, 0, v85, v61
	v_mul_f32_e32 v85, v74, v66
	v_mul_f32_e32 v41, v73, v66
	v_fma_f32 v66, v70, v63, -v40
	s_waitcnt vmcnt(9) lgkmcnt(0)
	v_mul_f32_e32 v70, v76, v23
	v_fmac_f32_e32 v71, v69, v63
	v_mul_f32_e32 v69, v58, v21
	v_mul_f32_e32 v21, v57, v21
	;; [unrolled: 1-line block ×3, first 2 shown]
	v_dual_fmac_f32 v70, v75, v22 :: v_dual_add_nc_u32 v83, 0x4c00, v44
	ds_load_2addr_b32 v[61:62], v47 offset1:1
	v_fmac_f32_e32 v85, v73, v65
	v_fma_f32 v65, v74, v65, -v41
	ds_load_2addr_b64 v[40:43], v46 offset0:64 offset1:208
	v_fmac_f32_e32 v69, v57, v20
	v_fma_f32 v74, v58, v20, -v21
	v_fma_f32 v75, v76, v22, -v23
	ds_load_2addr_b64 v[20:23], v83 offset0:16 offset1:160
	s_waitcnt vmcnt(8)
	v_mul_f32_e32 v73, v60, v17
	v_mul_f32_e32 v17, v59, v17
	;; [unrolled: 1-line block ×3, first 2 shown]
	s_delay_alu instid0(VALU_DEP_3) | instskip(SKIP_1) | instid1(VALU_DEP_4)
	v_fmac_f32_e32 v73, v59, v16
	v_lshlrev_b32_e32 v81, 3, v81
	v_fma_f32 v76, v60, v16, -v17
	v_mul_f32_e32 v16, v77, v19
	ds_load_2addr_b64 v[57:60], v84 offset0:80 offset1:224
	v_fmac_f32_e32 v83, v77, v18
	v_add3_u32 v81, 0, v86, v81
	s_waitcnt vmcnt(7) lgkmcnt(3)
	v_mul_f32_e32 v19, v62, v15
	v_mul_f32_e32 v63, v15, v61
	v_fma_f32 v77, v78, v18, -v16
	ds_load_2addr_b64 v[15:18], v82 offset0:48 offset1:192
	s_waitcnt vmcnt(6) lgkmcnt(3)
	v_mul_f32_e32 v82, v43, v9
	v_mul_f32_e32 v9, v42, v9
	;; [unrolled: 1-line block ×3, first 2 shown]
	s_waitcnt lgkmcnt(2)
	v_mul_f32_e32 v86, v21, v11
	v_dual_mul_f32 v11, v20, v11 :: v_dual_fmac_f32 v82, v42, v8
	v_fma_f32 v92, v43, v8, -v9
	s_delay_alu instid0(VALU_DEP_3) | instskip(NEXT) | instid1(VALU_DEP_3)
	v_dual_mul_f32 v13, v13, v40 :: v_dual_fmac_f32 v86, v20, v10
	v_fma_f32 v20, v21, v10, -v11
	ds_load_2addr_b64 v[8:11], v44 offset1:144
	v_fmac_f32_e32 v19, v14, v61
	v_fma_f32 v14, v62, v14, -v63
	s_waitcnt vmcnt(4) lgkmcnt(2)
	v_mul_f32_e32 v21, v60, v31
	ds_load_2addr_b64 v[61:64], v52 offset0:96 offset1:240
	v_fmac_f32_e32 v78, v12, v40
	v_fma_f32 v84, v12, v41, -v13
	v_mul_f32_e32 v91, v58, v37
	v_dual_mul_f32 v12, v57, v37 :: v_dual_mul_f32 v31, v59, v31
	v_fmac_f32_e32 v21, v59, v30
	ds_load_2addr_b64 v[40:43], v48 offset0:32 offset1:176
	v_fma_f32 v30, v60, v30, -v31
	s_waitcnt vmcnt(3)
	v_mul_f32_e32 v31, v23, v7
	v_dual_mul_f32 v7, v22, v7 :: v_dual_add_f32 v60, v85, v86
	s_waitcnt lgkmcnt(2)
	v_add_f32_e32 v59, v10, v85
	s_delay_alu instid0(VALU_DEP_3) | instskip(NEXT) | instid1(VALU_DEP_3)
	v_fmac_f32_e32 v31, v22, v6
	v_fma_f32 v6, v23, v6, -v7
	s_waitcnt vmcnt(2)
	v_mul_f32_e32 v7, v18, v29
	s_waitcnt lgkmcnt(1)
	v_mul_f32_e32 v37, v62, v5
	v_add_f32_e32 v59, v59, v86
	v_fmac_f32_e32 v91, v57, v36
	v_fma_f32 v36, v58, v36, -v12
	ds_load_b64 v[12:13], v44 offset:26496
	v_mul_f32_e32 v5, v61, v5
	v_mul_f32_e32 v22, v17, v29
	s_waitcnt vmcnt(1)
	v_mul_f32_e32 v23, v64, v1
	v_fmac_f32_e32 v37, v61, v4
	v_mul_f32_e32 v1, v63, v1
	v_fma_f32 v4, v62, v4, -v5
	v_mul_f32_e32 v5, v16, v3
	v_mul_f32_e32 v3, v15, v3
	v_fmac_f32_e32 v7, v17, v28
	v_fma_f32 v17, v18, v28, -v22
	v_fmac_f32_e32 v23, v63, v0
	v_fma_f32 v0, v64, v0, -v1
	;; [unrolled: 2-line block ×3, first 2 shown]
	v_add_f32_e32 v3, v8, v90
	v_add_f32_e32 v16, v68, v14
	v_dual_sub_f32 v64, v85, v86 :: v_dual_add_f32 v85, v92, v36
	s_waitcnt vmcnt(0) lgkmcnt(0)
	v_dual_add_f32 v28, v67, v84 :: v_dual_mul_f32 v29, v13, v27
	v_mul_f32_e32 v18, v12, v27
	v_sub_f32_e32 v27, v84, v17
	v_add_f32_e32 v57, v84, v17
	v_sub_f32_e32 v61, v65, v20
	v_fmac_f32_e32 v29, v12, v26
	v_fma_f32 v2, v13, v26, -v18
	v_add_f32_e32 v26, v78, v7
	v_add_f32_e32 v12, v90, v19
	v_sub_f32_e32 v18, v90, v19
	v_dual_add_f32 v84, v66, v92 :: v_dual_add_f32 v3, v3, v19
	v_add_f32_e32 v19, v70, v31
	v_add_f32_e32 v86, v74, v4
	v_fmac_f32_e32 v66, -0.5, v85
	v_add_f32_e32 v22, v89, v78
	v_fmac_f32_e32 v89, -0.5, v26
	v_fma_f32 v93, -0.5, v16, v9
	v_fma_f32 v10, -0.5, v60, v10
	v_sub_f32_e32 v58, v78, v7
	v_dual_add_f32 v90, v40, v70 :: v_dual_fmac_f32 v67, -0.5, v57
	v_sub_f32_e32 v57, v4, v30
	v_add_f32_e32 v4, v4, v30
	v_fma_f32 v60, -0.5, v19, v40
	v_add_f32_e32 v16, v86, v30
	v_fmamk_f32 v30, v18, 0x3f5db3d7, v93
	v_fmac_f32_e32 v93, 0xbf5db3d7, v18
	v_fmamk_f32 v18, v27, 0xbf5db3d7, v89
	v_fmac_f32_e32 v89, 0x3f5db3d7, v27
	v_add_f32_e32 v15, v9, v68
	v_dual_fmamk_f32 v40, v61, 0xbf5db3d7, v10 :: v_dual_add_f32 v7, v22, v7
	v_dual_add_f32 v22, v41, v75 :: v_dual_sub_f32 v13, v68, v14
	s_delay_alu instid0(VALU_DEP_3)
	v_add_f32_e32 v14, v15, v14
	v_sub_f32_e32 v15, v75, v6
	v_dual_add_f32 v75, v75, v6 :: v_dual_sub_f32 v70, v70, v31
	v_dual_add_f32 v26, v69, v37 :: v_dual_add_f32 v31, v90, v31
	v_sub_f32_e32 v90, v0, v2
	v_add_f32_e32 v22, v22, v6
	v_add_f32_e32 v6, v76, v0
	;; [unrolled: 1-line block ×3, first 2 shown]
	v_sub_f32_e32 v78, v92, v36
	v_add_f32_e32 v36, v84, v36
	v_dual_add_f32 v84, v73, v23 :: v_dual_add_f32 v85, v23, v29
	v_sub_f32_e32 v23, v23, v29
	v_fma_f32 v92, -0.5, v12, v8
	v_add_f32_e32 v12, v26, v21
	v_dual_fmac_f32 v76, -0.5, v0 :: v_dual_fmamk_f32 v27, v58, 0x3f5db3d7, v67
	v_fmac_f32_e32 v73, -0.5, v85
	v_add_f32_e32 v62, v11, v65
	s_delay_alu instid0(VALU_DEP_4)
	v_add_f32_e32 v8, v31, v12
	v_sub_f32_e32 v12, v31, v12
	v_fmamk_f32 v31, v23, 0x3f5db3d7, v76
	v_fmac_f32_e32 v76, 0xbf5db3d7, v23
	v_dual_mul_f32 v23, 0xbf5db3d7, v27 :: v_dual_add_f32 v26, v84, v29
	v_fmamk_f32 v29, v13, 0xbf5db3d7, v92
	v_dual_fmac_f32 v92, 0x3f5db3d7, v13 :: v_dual_add_f32 v9, v22, v16
	v_sub_f32_e32 v13, v22, v16
	v_fmamk_f32 v22, v90, 0xbf5db3d7, v73
	v_fmac_f32_e32 v73, 0x3f5db3d7, v90
	v_add_f32_e32 v63, v65, v20
	v_mul_f32_e32 v27, 0.5, v27
	v_fmac_f32_e32 v23, 0.5, v18
	v_add_f32_e32 v65, v71, v82
	v_add_f32_e32 v17, v28, v17
	s_delay_alu instid0(VALU_DEP_4) | instskip(NEXT) | instid1(VALU_DEP_4)
	v_dual_add_f32 v28, v37, v21 :: v_dual_fmac_f32 v27, 0x3f5db3d7, v18
	v_add_f32_e32 v18, v29, v23
	s_delay_alu instid0(VALU_DEP_4) | instskip(SKIP_1) | instid1(VALU_DEP_4)
	v_add_f32_e32 v65, v65, v91
	v_fmac_f32_e32 v67, 0xbf5db3d7, v58
	v_dual_fmac_f32 v69, -0.5, v28 :: v_dual_add_f32 v28, v6, v2
	v_sub_f32_e32 v37, v37, v21
	s_delay_alu instid0(VALU_DEP_4) | instskip(SKIP_4) | instid1(VALU_DEP_4)
	v_sub_f32_e32 v6, v59, v65
	v_add_f32_e32 v68, v82, v91
	v_dual_sub_f32 v82, v82, v91 :: v_dual_sub_f32 v91, v77, v1
	v_add_f32_e32 v20, v62, v20
	v_fmac_f32_e32 v74, -0.5, v4
	v_dual_fmac_f32 v71, -0.5, v68 :: v_dual_add_f32 v68, v43, v77
	v_dual_add_f32 v77, v77, v1 :: v_dual_add_f32 v0, v3, v7
	v_add_f32_e32 v62, v42, v83
	s_delay_alu instid0(VALU_DEP_3) | instskip(SKIP_1) | instid1(VALU_DEP_4)
	v_fmamk_f32 v58, v78, 0xbf5db3d7, v71
	v_dual_fmac_f32 v71, 0x3f5db3d7, v78 :: v_dual_mul_f32 v78, 0.5, v31
	v_fmac_f32_e32 v43, -0.5, v77
	v_mul_f32_e32 v77, 0xbf5db3d7, v76
	v_dual_mul_f32 v76, -0.5, v76 :: v_dual_add_f32 v19, v62, v5
	s_delay_alu instid0(VALU_DEP_4)
	v_fmac_f32_e32 v78, 0x3f5db3d7, v22
	v_fmac_f32_e32 v10, 0x3f5db3d7, v61
	v_fmamk_f32 v61, v82, 0x3f5db3d7, v66
	v_dual_fmac_f32 v66, 0xbf5db3d7, v82 :: v_dual_add_f32 v21, v68, v1
	v_dual_sub_f32 v2, v3, v7 :: v_dual_sub_f32 v7, v20, v36
	v_dual_fmac_f32 v76, 0x3f5db3d7, v73 :: v_dual_fmac_f32 v11, -0.5, v63
	v_add_f32_e32 v63, v83, v5
	v_sub_f32_e32 v83, v83, v5
	v_dual_add_f32 v5, v20, v36 :: v_dual_fmamk_f32 v20, v57, 0xbf5db3d7, v69
	v_dual_fmac_f32 v69, 0x3f5db3d7, v57 :: v_dual_fmamk_f32 v36, v37, 0x3f5db3d7, v74
	v_dual_fmac_f32 v74, 0xbf5db3d7, v37 :: v_dual_mul_f32 v57, 0xbf5db3d7, v66
	v_add_f32_e32 v1, v14, v17
	v_sub_f32_e32 v3, v14, v17
	v_add_f32_e32 v4, v59, v65
	v_fmamk_f32 v59, v15, 0xbf5db3d7, v60
	v_fmac_f32_e32 v60, 0x3f5db3d7, v15
	v_dual_add_f32 v14, v19, v26 :: v_dual_add_f32 v15, v21, v28
	v_dual_sub_f32 v16, v19, v26 :: v_dual_sub_f32 v17, v21, v28
	v_mul_f32_e32 v26, 0xbf5db3d7, v67
	v_dual_mul_f32 v28, -0.5, v67 :: v_dual_mul_f32 v65, 0xbf5db3d7, v74
	v_dual_mul_f32 v67, -0.5, v74 :: v_dual_mul_f32 v74, 0xbf5db3d7, v31
	v_fmac_f32_e32 v57, -0.5, v71
	v_mul_f32_e32 v37, 0xbf5db3d7, v61
	v_mul_f32_e32 v61, 0.5, v61
	v_fma_f32 v42, -0.5, v63, v42
	v_dual_mul_f32 v63, -0.5, v66 :: v_dual_mul_f32 v66, 0.5, v36
	v_dual_fmac_f32 v74, 0.5, v22 :: v_dual_add_f32 v19, v30, v27
	v_sub_f32_e32 v22, v29, v23
	v_sub_f32_e32 v23, v30, v27
	v_add_f32_e32 v30, v10, v57
	v_fma_f32 v75, -0.5, v75, v41
	v_fmamk_f32 v41, v64, 0x3f5db3d7, v11
	v_fmac_f32_e32 v11, 0xbf5db3d7, v64
	v_mul_f32_e32 v64, 0xbf5db3d7, v36
	v_fmac_f32_e32 v26, -0.5, v89
	v_dual_fmac_f32 v28, 0x3f5db3d7, v89 :: v_dual_fmac_f32 v37, 0.5, v58
	v_fmac_f32_e32 v61, 0x3f5db3d7, v58
	v_fmac_f32_e32 v63, 0x3f5db3d7, v71
	v_fmamk_f32 v62, v70, 0x3f5db3d7, v75
	v_dual_fmac_f32 v75, 0xbf5db3d7, v70 :: v_dual_fmamk_f32 v68, v91, 0xbf5db3d7, v42
	v_fmac_f32_e32 v42, 0x3f5db3d7, v91
	v_fmamk_f32 v70, v83, 0x3f5db3d7, v43
	v_dual_fmac_f32 v43, 0xbf5db3d7, v83 :: v_dual_fmac_f32 v64, 0.5, v20
	v_dual_fmac_f32 v65, -0.5, v69 :: v_dual_fmac_f32 v66, 0x3f5db3d7, v20
	v_fmac_f32_e32 v67, 0x3f5db3d7, v69
	v_dual_fmac_f32 v77, -0.5, v73 :: v_dual_add_f32 v20, v92, v26
	v_dual_add_f32 v21, v93, v28 :: v_dual_sub_f32 v26, v92, v26
	v_dual_sub_f32 v27, v93, v28 :: v_dual_add_f32 v28, v40, v37
	v_add_f32_e32 v29, v41, v61
	v_add_f32_e32 v31, v11, v63
	s_barrier
	buffer_gl0_inv
	v_sub_f32_e32 v36, v40, v37
	v_sub_f32_e32 v10, v10, v57
	;; [unrolled: 1-line block ×4, first 2 shown]
	v_dual_add_f32 v40, v59, v64 :: v_dual_add_f32 v57, v60, v65
	v_dual_add_f32 v41, v62, v66 :: v_dual_add_f32 v58, v75, v67
	v_sub_f32_e32 v59, v59, v64
	v_dual_sub_f32 v61, v60, v65 :: v_dual_sub_f32 v60, v62, v66
	v_dual_sub_f32 v62, v75, v67 :: v_dual_add_f32 v63, v68, v74
	v_add_f32_e32 v65, v42, v77
	v_add_f32_e32 v64, v70, v78
	v_dual_add_f32 v66, v43, v76 :: v_dual_sub_f32 v67, v68, v74
	v_sub_f32_e32 v42, v42, v77
	v_dual_sub_f32 v68, v70, v78 :: v_dual_sub_f32 v43, v43, v76
	ds_store_2addr_b64 v87, v[0:1], v[18:19] offset1:36
	ds_store_2addr_b64 v87, v[20:21], v[2:3] offset0:72 offset1:108
	ds_store_2addr_b64 v87, v[22:23], v[26:27] offset0:144 offset1:180
	ds_store_2addr_b64 v88, v[4:5], v[28:29] offset1:36
	ds_store_2addr_b64 v88, v[30:31], v[6:7] offset0:72 offset1:108
	ds_store_2addr_b64 v88, v[36:37], v[10:11] offset0:144 offset1:180
	;; [unrolled: 3-line block ×4, first 2 shown]
	v_add_nc_u16 v16, v32, 0x240
	v_sub_nc_u16 v8, v56, v24
	v_add_nc_u16 v17, v32, 0x2d0
	s_waitcnt lgkmcnt(0)
	s_barrier
	v_lshrrev_b16 v9, 3, v16
	buffer_gl0_inv
	global_load_b128 v[0:3], v39, s[4:5] offset:1680
	v_and_b32_e32 v24, 0xffff, v8
	v_lshrrev_b16 v12, 3, v17
	v_and_b32_e32 v8, 0xffff, v9
	s_clause 0x1
	global_load_b128 v[4:7], v[79:80], off offset:1680
	global_load_b64 v[30:31], v39, s[4:5] offset:1696
	v_mul_u32_u24_e32 v9, 3, v24
	v_and_b32_e32 v20, 0xffff, v12
	v_mul_u32_u24_e32 v18, 0x12f7, v8
	v_lshlrev_b32_e32 v28, 3, v38
	v_add_nc_u32_e32 v73, 0xd00, v44
	v_lshlrev_b32_e32 v19, 3, v9
	global_load_b128 v[8:11], v39, s[4:5] offset:3408
	v_lshrrev_b32_e32 v40, 17, v18
	v_mul_u32_u24_e32 v18, 0x12f7, v20
	v_lshl_add_u32 v24, v24, 3, 0
	s_clause 0x2
	global_load_b128 v[12:15], v19, s[4:5] offset:1680
	global_load_b64 v[59:60], v[79:80], off offset:1696
	global_load_b64 v[61:62], v39, s[4:5] offset:3424
	v_mul_lo_u16 v20, 0xd8, v40
	v_lshrrev_b32_e32 v18, 17, v18
	global_load_b64 v[63:64], v19, s[4:5] offset:1696
	v_mul_u32_u24_e32 v40, 0x1b00, v40
	v_add_nc_u32_e32 v74, 0x1d00, v44
	v_sub_nc_u16 v16, v16, v20
	v_mul_lo_u16 v18, 0xd8, v18
	v_add_nc_u32_e32 v75, 0x2a00, v44
	v_add_nc_u32_e32 v84, 0x3600, v24
	;; [unrolled: 1-line block ×3, first 2 shown]
	v_and_b32_e32 v41, 0xffff, v16
	v_sub_nc_u16 v16, v17, v18
	s_delay_alu instid0(VALU_DEP_2) | instskip(NEXT) | instid1(VALU_DEP_2)
	v_mul_u32_u24_e32 v17, 3, v41
	v_and_b32_e32 v42, 0xffff, v16
	v_lshlrev_b32_e32 v41, 3, v41
	s_delay_alu instid0(VALU_DEP_3) | instskip(NEXT) | instid1(VALU_DEP_3)
	v_lshlrev_b32_e32 v26, 3, v17
	v_mul_u32_u24_e32 v20, 3, v42
	v_lshl_add_u32 v83, v42, 3, 0
	s_delay_alu instid0(VALU_DEP_4)
	v_add3_u32 v85, 0, v40, v41
	global_load_b128 v[16:19], v26, s[4:5] offset:1680
	v_lshlrev_b32_e32 v27, 3, v20
	s_clause 0x2
	global_load_b128 v[20:23], v27, s[4:5] offset:1680
	global_load_b64 v[65:66], v26, s[4:5] offset:1696
	global_load_b64 v[67:68], v27, s[4:5] offset:1696
	v_cndmask_b32_e64 v26, 0, 0x1b00, s0
	v_mul_u32_u24_e32 v27, 3, v55
	v_add_co_u32 v76, s0, s4, v39
	s_delay_alu instid0(VALU_DEP_1) | instskip(NEXT) | instid1(VALU_DEP_3)
	v_add_co_ci_u32_e64 v77, null, s5, 0, s0
	v_lshlrev_b32_e32 v78, 3, v27
	v_add3_u32 v79, 0, v26, v28
	ds_load_2addr_b64 v[26:29], v49 offset0:96 offset1:240
	ds_load_2addr_b64 v[36:39], v46 offset0:64 offset1:208
	ds_load_2addr_b64 v[40:43], v45 offset1:144
	ds_load_2addr_b64 v[55:58], v52 offset0:96 offset1:240
	v_add_co_u32 v69, s0, 0x1000, v76
	s_delay_alu instid0(VALU_DEP_1) | instskip(SKIP_1) | instid1(VALU_DEP_1)
	v_add_co_ci_u32_e64 v70, s0, 0, v77, s0
	v_add_co_u32 v80, s0, s4, v78
	v_add_co_ci_u32_e64 v81, null, s5, 0, s0
	v_add_nc_u32_e32 v82, 0xd00, v79
	s_delay_alu instid0(VALU_DEP_3) | instskip(NEXT) | instid1(VALU_DEP_1)
	v_add_co_u32 v71, s0, 0x1000, v80
	v_add_co_ci_u32_e64 v72, s0, 0, v81, s0
	v_add_nc_u32_e32 v89, 0x5000, v83
	v_add_nc_u32_e32 v83, 0x5e00, v83
	;; [unrolled: 1-line block ×3, first 2 shown]
	s_waitcnt vmcnt(11) lgkmcnt(2)
	v_dual_mul_f32 v87, v3, v37 :: v_dual_mul_f32 v86, v1, v27
	v_mul_f32_e32 v1, v1, v26
	s_waitcnt vmcnt(10)
	v_dual_mul_f32 v3, v3, v36 :: v_dual_mul_f32 v88, v29, v5
	s_delay_alu instid0(VALU_DEP_3)
	v_dual_fmac_f32 v87, v2, v36 :: v_dual_mul_f32 v36, v39, v7
	v_mul_f32_e32 v5, v28, v5
	v_fmac_f32_e32 v86, v0, v26
	v_fma_f32 v26, v0, v27, -v1
	v_fma_f32 v27, v2, v37, -v3
	v_mul_f32_e32 v7, v38, v7
	ds_load_2addr_b64 v[0:3], v54 offset0:32 offset1:176
	s_waitcnt vmcnt(8) lgkmcnt(2)
	v_dual_fmac_f32 v36, v38, v6 :: v_dual_mul_f32 v37, v41, v9
	v_mul_f32_e32 v9, v40, v9
	s_waitcnt lgkmcnt(1)
	v_mul_f32_e32 v38, v56, v11
	v_fmac_f32_e32 v88, v28, v4
	v_fma_f32 v28, v29, v4, -v5
	v_fma_f32 v29, v39, v6, -v7
	ds_load_2addr_b64 v[4:7], v51 offset0:64 offset1:208
	v_mul_f32_e32 v11, v55, v11
	s_waitcnt vmcnt(7)
	v_mul_f32_e32 v39, v43, v13
	v_fmac_f32_e32 v37, v40, v8
	v_fma_f32 v40, v41, v8, -v9
	v_fmac_f32_e32 v38, v55, v10
	v_mul_f32_e32 v8, v42, v13
	v_mul_f32_e32 v55, v58, v15
	;; [unrolled: 1-line block ×3, first 2 shown]
	v_fma_f32 v41, v56, v10, -v11
	v_fmac_f32_e32 v39, v42, v12
	v_fma_f32 v42, v43, v12, -v8
	ds_load_2addr_b64 v[8:11], v50 offset0:32 offset1:176
	v_fmac_f32_e32 v55, v57, v14
	v_fma_f32 v43, v58, v14, -v13
	ds_load_2addr_b64 v[12:15], v47 offset1:144
	s_waitcnt lgkmcnt(3)
	v_mul_f32_e32 v56, v31, v1
	v_mul_f32_e32 v31, v31, v0
	s_waitcnt vmcnt(6)
	v_mul_f32_e32 v57, v3, v60
	v_mul_f32_e32 v58, v2, v60
	s_waitcnt vmcnt(5) lgkmcnt(2)
	v_mul_f32_e32 v60, v4, v62
	v_fmac_f32_e32 v56, v30, v0
	v_fma_f32 v30, v30, v1, -v31
	s_waitcnt vmcnt(4)
	v_dual_mul_f32 v31, v5, v62 :: v_dual_mul_f32 v62, v6, v64
	v_fmac_f32_e32 v57, v2, v59
	v_fma_f32 v58, v3, v59, -v58
	ds_load_2addr_b64 v[0:3], v53 offset0:96 offset1:240
	v_mul_f32_e32 v59, v7, v64
	v_fmac_f32_e32 v31, v4, v61
	v_fma_f32 v60, v5, v61, -v60
	s_waitcnt vmcnt(3) lgkmcnt(2)
	v_mul_f32_e32 v61, v9, v17
	v_mul_f32_e32 v4, v8, v17
	v_fma_f32 v17, v7, v63, -v62
	s_waitcnt lgkmcnt(1)
	v_mul_f32_e32 v62, v13, v19
	v_mul_f32_e32 v5, v12, v19
	s_waitcnt vmcnt(2)
	v_mul_f32_e32 v19, v11, v21
	v_mul_f32_e32 v21, v10, v21
	v_dual_fmac_f32 v59, v6, v63 :: v_dual_fmac_f32 v62, v12, v18
	v_mul_f32_e32 v63, v15, v23
	v_dual_mul_f32 v12, v14, v23 :: v_dual_fmac_f32 v61, v8, v16
	v_fma_f32 v16, v9, v16, -v4
	v_fma_f32 v18, v13, v18, -v5
	ds_load_2addr_b64 v[4:7], v44 offset1:144
	v_fmac_f32_e32 v19, v10, v20
	v_fma_f32 v20, v11, v20, -v21
	ds_load_2addr_b64 v[8:11], v48 offset0:32 offset1:176
	v_fmac_f32_e32 v63, v14, v22
	v_fma_f32 v21, v15, v22, -v12
	ds_load_2addr_b64 v[12:15], v33 offset0:64 offset1:208
	s_waitcnt vmcnt(1) lgkmcnt(3)
	v_mul_f32_e32 v22, v1, v66
	s_waitcnt vmcnt(0)
	v_dual_mul_f32 v23, v0, v66 :: v_dual_mul_f32 v64, v3, v68
	v_dual_mul_f32 v66, v2, v68 :: v_dual_sub_f32 v31, v37, v31
	s_delay_alu instid0(VALU_DEP_3) | instskip(NEXT) | instid1(VALU_DEP_3)
	v_fmac_f32_e32 v22, v0, v65
	v_fma_f32 v0, v1, v65, -v23
	s_delay_alu instid0(VALU_DEP_4) | instskip(NEXT) | instid1(VALU_DEP_4)
	v_fmac_f32_e32 v64, v2, v67
	v_fma_f32 v1, v3, v67, -v66
	v_sub_f32_e32 v2, v86, v56
	v_sub_f32_e32 v3, v26, v30
	;; [unrolled: 1-line block ×4, first 2 shown]
	s_waitcnt lgkmcnt(2)
	v_sub_f32_e32 v23, v4, v87
	v_dual_sub_f32 v27, v5, v27 :: v_dual_sub_f32 v30, v6, v36
	v_sub_f32_e32 v29, v7, v29
	v_sub_f32_e32 v36, v88, v57
	s_waitcnt lgkmcnt(1)
	v_dual_sub_f32 v38, v8, v38 :: v_dual_sub_f32 v41, v9, v41
	v_sub_f32_e32 v57, v40, v60
	v_sub_f32_e32 v55, v10, v55
	;; [unrolled: 1-line block ×4, first 2 shown]
	s_waitcnt lgkmcnt(0)
	v_sub_f32_e32 v59, v12, v62
	v_sub_f32_e32 v60, v13, v18
	;; [unrolled: 1-line block ×4, first 2 shown]
	v_dual_sub_f32 v62, v14, v63 :: v_dual_sub_f32 v63, v15, v21
	v_dual_sub_f32 v21, v19, v64 :: v_dual_sub_f32 v64, v20, v1
	v_fma_f32 v65, v4, 2.0, -v23
	v_fma_f32 v66, v5, 2.0, -v27
	;; [unrolled: 1-line block ×8, first 2 shown]
	v_dual_add_f32 v0, v23, v3 :: v_dual_sub_f32 v3, v29, v36
	v_fma_f32 v88, v8, 2.0, -v38
	v_fma_f32 v91, v9, 2.0, -v41
	;; [unrolled: 1-line block ×4, first 2 shown]
	v_dual_sub_f32 v1, v27, v2 :: v_dual_add_f32 v2, v30, v56
	v_dual_add_f32 v4, v38, v57 :: v_dual_sub_f32 v5, v41, v31
	v_fma_f32 v92, v10, 2.0, -v55
	v_fma_f32 v93, v11, 2.0, -v43
	;; [unrolled: 1-line block ×12, first 2 shown]
	v_dual_sub_f32 v7, v43, v58 :: v_dual_sub_f32 v12, v65, v67
	v_dual_sub_f32 v13, v66, v26 :: v_dual_add_f32 v6, v55, v17
	v_dual_sub_f32 v16, v68, v87 :: v_dual_sub_f32 v17, v86, v28
	v_dual_sub_f32 v11, v63, v21 :: v_dual_sub_f32 v20, v88, v36
	v_sub_f32_e32 v21, v91, v37
	v_add_f32_e32 v8, v59, v22
	v_dual_sub_f32 v9, v60, v18 :: v_dual_add_f32 v10, v62, v64
	v_fma_f32 v15, v27, 2.0, -v1
	v_fma_f32 v18, v30, 2.0, -v2
	;; [unrolled: 1-line block ×3, first 2 shown]
	v_sub_f32_e32 v26, v92, v31
	v_dual_sub_f32 v27, v93, v39 :: v_dual_sub_f32 v30, v94, v40
	v_dual_sub_f32 v31, v95, v42 :: v_dual_sub_f32 v38, v96, v56
	v_sub_f32_e32 v39, v97, v57
	v_fma_f32 v14, v23, 2.0, -v0
	v_fma_f32 v19, v29, 2.0, -v3
	;; [unrolled: 1-line block ×11, first 2 shown]
	s_barrier
	buffer_gl0_inv
	v_fma_f32 v36, v59, 2.0, -v8
	v_fma_f32 v37, v60, 2.0, -v9
	;; [unrolled: 1-line block ×10, first 2 shown]
	ds_store_2addr_b64 v73, v[12:13], v[0:1] offset0:16 offset1:232
	ds_store_2addr_b64 v44, v[42:43], v[14:15] offset1:216
	ds_store_2addr_b64 v79, v[55:56], v[18:19] offset1:216
	ds_store_2addr_b64 v82, v[16:17], v[2:3] offset0:16 offset1:232
	ds_store_2addr_b64 v74, v[57:58], v[22:23] offset0:8 offset1:224
	;; [unrolled: 1-line block ×3, first 2 shown]
	ds_store_2addr_b64 v84, v[59:60], v[28:29] offset1:216
	ds_store_2addr_b64 v24, v[26:27], v[6:7] offset0:16 offset1:232
	ds_store_2addr_b64 v85, v[61:62], v[36:37] offset1:216
	ds_store_2addr_b64 v90, v[30:31], v[8:9] offset0:16 offset1:232
	ds_store_2addr_b64 v89, v[63:64], v[40:41] offset0:32 offset1:248
	;; [unrolled: 1-line block ×3, first 2 shown]
	v_add_co_u32 v16, s0, 0x1ad0, v76
	s_delay_alu instid0(VALU_DEP_1) | instskip(SKIP_1) | instid1(VALU_DEP_1)
	v_add_co_ci_u32_e64 v17, s0, 0, v77, s0
	v_add_co_u32 v18, s0, 0x1ad0, v80
	v_add_co_ci_u32_e64 v19, s0, 0, v81, s0
	s_waitcnt lgkmcnt(0)
	s_barrier
	buffer_gl0_inv
	s_clause 0x1
	global_load_b128 v[0:3], v[69:70], off offset:2768
	global_load_b128 v[4:7], v[71:72], off offset:2768
	v_add_co_u32 v8, s0, 0x2000, v80
	s_delay_alu instid0(VALU_DEP_1) | instskip(SKIP_1) | instid1(VALU_DEP_1)
	v_add_co_ci_u32_e64 v9, s0, 0, v81, s0
	v_add_co_u32 v12, s0, 0x3000, v80
	v_add_co_ci_u32_e64 v13, s0, 0, v81, s0
	v_add_co_u32 v20, s0, 0x2850, v80
	v_add_nc_u32_e32 v24, 0x2880, v78
	s_clause 0x1
	global_load_b128 v[8:11], v[8:9], off offset:2128
	global_load_b128 v[12:15], v[12:13], off offset:1488
	v_add_co_ci_u32_e64 v21, s0, 0, v81, s0
	v_add_co_u32 v22, s0, 0x35d0, v80
	v_add_nc_u32_e32 v26, 0x3600, v78
	v_add_co_ci_u32_e64 v23, s0, 0, v81, s0
	v_add_co_u32 v24, s0, s4, v24
	s_delay_alu instid0(VALU_DEP_1) | instskip(NEXT) | instid1(VALU_DEP_4)
	v_add_co_ci_u32_e64 v28, null, s5, 0, s0
	v_add_co_u32 v29, s0, s4, v26
	s_delay_alu instid0(VALU_DEP_1) | instskip(NEXT) | instid1(VALU_DEP_4)
	v_add_co_ci_u32_e64 v36, null, s5, 0, s0
	v_add_co_u32 v26, s0, 0x1000, v24
	s_delay_alu instid0(VALU_DEP_1)
	v_add_co_ci_u32_e64 v27, s0, 0, v28, s0
	s_clause 0x3
	global_load_b64 v[30:31], v[16:17], off offset:16
	global_load_b64 v[75:76], v[18:19], off offset:16
	;; [unrolled: 1-line block ×4, first 2 shown]
	v_add_co_u32 v20, s0, 0x1ad0, v24
	s_delay_alu instid0(VALU_DEP_1) | instskip(SKIP_1) | instid1(VALU_DEP_1)
	v_add_co_ci_u32_e64 v21, s0, 0, v28, s0
	v_add_co_u32 v22, s0, 0x1000, v29
	v_add_co_ci_u32_e64 v23, s0, 0, v36, s0
	global_load_b128 v[16:19], v[26:27], off offset:2768
	v_add_co_u32 v26, s0, 0x1ad0, v29
	s_delay_alu instid0(VALU_DEP_1)
	v_add_co_ci_u32_e64 v27, s0, 0, v36, s0
	s_clause 0x2
	global_load_b64 v[81:82], v[20:21], off offset:16
	global_load_b128 v[20:23], v[22:23], off offset:2768
	global_load_b64 v[83:84], v[26:27], off offset:16
	ds_load_2addr_b64 v[26:29], v49 offset0:96 offset1:240
	ds_load_2addr_b64 v[36:39], v46 offset0:64 offset1:208
	ds_load_2addr_b64 v[40:43], v44 offset1:144
	ds_load_2addr_b64 v[55:58], v54 offset0:32 offset1:176
	ds_load_2addr_b64 v[59:62], v48 offset0:32 offset1:176
	ds_load_2addr_b64 v[63:66], v45 offset1:144
	ds_load_2addr_b64 v[67:70], v52 offset0:96 offset1:240
	ds_load_2addr_b64 v[71:74], v51 offset0:64 offset1:208
	s_waitcnt vmcnt(11) lgkmcnt(6)
	v_mul_f32_e32 v85, v3, v37
	s_waitcnt vmcnt(10)
	v_dual_mul_f32 v3, v3, v36 :: v_dual_mul_f32 v86, v29, v5
	v_dual_mul_f32 v5, v28, v5 :: v_dual_mul_f32 v24, v1, v27
	s_delay_alu instid0(VALU_DEP_3) | instskip(NEXT) | instid1(VALU_DEP_3)
	v_fmac_f32_e32 v85, v2, v36
	v_fma_f32 v36, v2, v37, -v3
	v_mul_f32_e32 v37, v39, v7
	v_mul_f32_e32 v7, v38, v7
	v_dual_mul_f32 v1, v1, v26 :: v_dual_fmac_f32 v86, v28, v4
	v_fma_f32 v88, v29, v4, -v5
	s_delay_alu instid0(VALU_DEP_4) | instskip(NEXT) | instid1(VALU_DEP_4)
	v_fmac_f32_e32 v37, v38, v6
	v_fma_f32 v38, v39, v6, -v7
	s_waitcnt vmcnt(9) lgkmcnt(2)
	v_mul_f32_e32 v39, v64, v9
	s_waitcnt lgkmcnt(1)
	v_dual_mul_f32 v4, v63, v9 :: v_dual_mul_f32 v89, v68, v11
	s_waitcnt vmcnt(8)
	v_dual_mul_f32 v5, v67, v11 :: v_dual_mul_f32 v90, v66, v13
	v_dual_mul_f32 v9, v65, v13 :: v_dual_fmac_f32 v24, v0, v26
	v_fma_f32 v87, v0, v27, -v1
	ds_load_2addr_b64 v[26:29], v50 offset0:32 offset1:176
	v_fmac_f32_e32 v39, v63, v8
	v_fma_f32 v13, v64, v8, -v4
	v_fmac_f32_e32 v89, v67, v10
	v_fma_f32 v63, v68, v10, -v5
	ds_load_2addr_b64 v[4:7], v47 offset1:144
	v_fmac_f32_e32 v90, v65, v12
	v_fma_f32 v12, v66, v12, -v9
	ds_load_2addr_b64 v[8:11], v53 offset0:96 offset1:240
	ds_load_2addr_b64 v[0:3], v33 offset0:64 offset1:208
	v_mul_f32_e32 v64, v70, v15
	v_mul_f32_e32 v15, v69, v15
	s_waitcnt vmcnt(6)
	v_mul_f32_e32 v65, v58, v76
	s_waitcnt vmcnt(5) lgkmcnt(4)
	v_dual_mul_f32 v66, v57, v76 :: v_dual_mul_f32 v67, v72, v78
	v_fmac_f32_e32 v64, v69, v14
	v_fma_f32 v14, v70, v14, -v15
	v_mul_f32_e32 v15, v31, v56
	v_mul_f32_e32 v31, v31, v55
	s_waitcnt vmcnt(4)
	v_dual_mul_f32 v68, v71, v78 :: v_dual_mul_f32 v69, v74, v80
	s_delay_alu instid0(VALU_DEP_3) | instskip(NEXT) | instid1(VALU_DEP_3)
	v_dual_mul_f32 v70, v73, v80 :: v_dual_fmac_f32 v15, v30, v55
	v_fma_f32 v30, v30, v56, -v31
	s_waitcnt vmcnt(3) lgkmcnt(3)
	v_mul_f32_e32 v31, v27, v17
	v_mul_f32_e32 v17, v26, v17
	v_fmac_f32_e32 v65, v57, v75
	v_fma_f32 v55, v58, v75, -v66
	s_waitcnt lgkmcnt(2)
	v_mul_f32_e32 v56, v5, v19
	v_mul_f32_e32 v19, v4, v19
	s_waitcnt vmcnt(2) lgkmcnt(1)
	v_mul_f32_e32 v57, v9, v82
	v_mul_f32_e32 v58, v8, v82
	s_waitcnt vmcnt(1)
	v_mul_f32_e32 v66, v29, v21
	v_mul_f32_e32 v21, v28, v21
	v_fmac_f32_e32 v67, v71, v77
	v_fma_f32 v68, v72, v77, -v68
	v_mul_f32_e32 v71, v7, v23
	v_mul_f32_e32 v23, v6, v23
	s_waitcnt vmcnt(0)
	v_dual_fmac_f32 v69, v73, v79 :: v_dual_mul_f32 v72, v11, v84
	v_mul_f32_e32 v73, v10, v84
	v_fma_f32 v70, v74, v79, -v70
	v_fmac_f32_e32 v31, v26, v16
	v_fma_f32 v16, v27, v16, -v17
	v_fmac_f32_e32 v56, v4, v18
	;; [unrolled: 2-line block ×6, first 2 shown]
	v_fma_f32 v7, v11, v83, -v73
	v_dual_sub_f32 v18, v40, v85 :: v_dual_sub_f32 v19, v41, v36
	v_dual_sub_f32 v8, v24, v15 :: v_dual_sub_f32 v9, v87, v30
	;; [unrolled: 1-line block ×8, first 2 shown]
	s_waitcnt lgkmcnt(0)
	v_sub_f32_e32 v36, v0, v56
	v_dual_sub_f32 v37, v1, v4 :: v_dual_sub_f32 v30, v31, v57
	v_dual_sub_f32 v38, v16, v5 :: v_dual_sub_f32 v55, v2, v71
	v_dual_sub_f32 v56, v3, v6 :: v_dual_sub_f32 v57, v66, v72
	v_sub_f32_e32 v58, v17, v7
	v_fma_f32 v63, v40, 2.0, -v18
	v_fma_f32 v64, v41, 2.0, -v19
	;; [unrolled: 1-line block ×4, first 2 shown]
	v_dual_add_f32 v4, v18, v9 :: v_dual_sub_f32 v5, v19, v8
	v_fma_f32 v42, v42, 2.0, -v20
	v_fma_f32 v43, v43, 2.0, -v21
	v_fma_f32 v41, v86, 2.0, -v10
	v_fma_f32 v65, v88, 2.0, -v11
	v_dual_add_f32 v6, v20, v11 :: v_dual_sub_f32 v7, v21, v10
	v_fma_f32 v59, v59, 2.0, -v22
	v_fma_f32 v60, v60, 2.0, -v23
	;; [unrolled: 1-line block ×4, first 2 shown]
	v_add_f32_e32 v8, v22, v26
	v_fma_f32 v61, v61, 2.0, -v28
	v_fma_f32 v62, v62, 2.0, -v29
	;; [unrolled: 1-line block ×8, first 2 shown]
	v_add_f32_e32 v0, v36, v38
	v_fma_f32 v72, v2, 2.0, -v55
	v_fma_f32 v73, v3, 2.0, -v56
	;; [unrolled: 1-line block ×4, first 2 shown]
	v_sub_f32_e32 v9, v23, v15
	v_dual_add_f32 v10, v28, v27 :: v_dual_sub_f32 v11, v29, v14
	v_sub_f32_e32 v1, v37, v30
	v_dual_add_f32 v2, v55, v58 :: v_dual_sub_f32 v3, v56, v57
	v_sub_f32_e32 v12, v63, v24
	v_sub_f32_e32 v13, v64, v40
	v_fma_f32 v14, v18, 2.0, -v4
	v_fma_f32 v15, v19, 2.0, -v5
	v_sub_f32_e32 v16, v42, v41
	v_sub_f32_e32 v17, v43, v65
	v_fma_f32 v18, v20, 2.0, -v6
	v_fma_f32 v19, v21, 2.0, -v7
	v_sub_f32_e32 v20, v59, v39
	v_dual_sub_f32 v21, v60, v67 :: v_dual_sub_f32 v26, v61, v26
	v_dual_sub_f32 v27, v62, v68 :: v_dual_sub_f32 v30, v69, v31
	v_dual_sub_f32 v31, v70, v71 :: v_dual_sub_f32 v38, v72, v38
	v_sub_f32_e32 v39, v73, v66
	v_fma_f32 v22, v22, 2.0, -v8
	v_fma_f32 v23, v23, 2.0, -v9
	;; [unrolled: 1-line block ×8, first 2 shown]
	s_barrier
	buffer_gl0_inv
	ds_store_2addr_b64 v54, v[4:5], v[6:7] offset0:32 offset1:176
	ds_store_2addr_b64 v51, v[8:9], v[10:11] offset0:64 offset1:208
	;; [unrolled: 1-line block ×3, first 2 shown]
	v_fma_f32 v0, v63, 2.0, -v12
	v_fma_f32 v1, v64, 2.0, -v13
	;; [unrolled: 1-line block ×12, first 2 shown]
	ds_store_2addr_b64 v49, v[14:15], v[18:19] offset0:96 offset1:240
	ds_store_2addr_b64 v46, v[12:13], v[16:17] offset0:64 offset1:208
	ds_store_2addr_b64 v45, v[22:23], v[28:29] offset1:144
	ds_store_2addr_b64 v52, v[20:21], v[26:27] offset0:96 offset1:240
	ds_store_2addr_b64 v50, v[36:37], v[40:41] offset0:32 offset1:176
	ds_store_2addr_b64 v47, v[30:31], v[38:39] offset1:144
	ds_store_2addr_b64 v44, v[0:1], v[2:3] offset1:144
	ds_store_2addr_b64 v48, v[4:5], v[6:7] offset0:32 offset1:176
	ds_store_2addr_b64 v33, v[8:9], v[10:11] offset0:64 offset1:208
	s_waitcnt lgkmcnt(0)
	s_barrier
	buffer_gl0_inv
	s_and_saveexec_b32 s0, vcc_lo
	s_cbranch_execz .LBB0_19
; %bb.18:
	v_dual_mov_b32 v33, v25 :: v_dual_add_nc_u32 v24, 0x90, v32
	v_lshl_add_u32 v28, v32, 3, 0
	s_delay_alu instid0(VALU_DEP_2) | instskip(SKIP_2) | instid1(VALU_DEP_4)
	v_lshlrev_b64 v[4:5], 3, v[32:33]
	v_add_co_u32 v33, vcc_lo, s8, v34
	v_add_co_ci_u32_e32 v34, vcc_lo, s9, v35, vcc_lo
	v_add_nc_u32_e32 v6, 0x800, v28
	ds_load_2addr_b64 v[0:3], v28 offset1:144
	v_lshlrev_b64 v[8:9], 3, v[24:25]
	v_add_nc_u32_e32 v24, 0x120, v32
	v_add_co_u32 v10, vcc_lo, v33, v4
	v_add_co_ci_u32_e32 v11, vcc_lo, v34, v5, vcc_lo
	ds_load_2addr_b64 v[4:7], v6 offset0:32 offset1:176
	v_lshlrev_b64 v[12:13], 3, v[24:25]
	v_add_nc_u32_e32 v24, 0x1b0, v32
	v_add_co_u32 v8, vcc_lo, v33, v8
	v_add_co_ci_u32_e32 v9, vcc_lo, v34, v9, vcc_lo
	s_delay_alu instid0(VALU_DEP_3) | instskip(SKIP_3) | instid1(VALU_DEP_4)
	v_lshlrev_b64 v[14:15], 3, v[24:25]
	v_add_co_u32 v12, vcc_lo, v33, v12
	v_add_nc_u32_e32 v24, 0x240, v32
	v_add_co_ci_u32_e32 v13, vcc_lo, v34, v13, vcc_lo
	v_add_co_u32 v14, vcc_lo, v33, v14
	v_add_co_ci_u32_e32 v15, vcc_lo, v34, v15, vcc_lo
	v_add_nc_u32_e32 v18, 0x1000, v28
	v_lshlrev_b64 v[16:17], 3, v[24:25]
	v_add_nc_u32_e32 v24, 0x2d0, v32
	s_waitcnt lgkmcnt(1)
	s_clause 0x1
	global_store_b64 v[10:11], v[0:1], off
	global_store_b64 v[8:9], v[2:3], off
	s_waitcnt lgkmcnt(0)
	s_clause 0x1
	global_store_b64 v[12:13], v[4:5], off
	global_store_b64 v[14:15], v[6:7], off
	v_add_nc_u32_e32 v4, 0x1800, v28
	ds_load_2addr_b64 v[0:3], v18 offset0:64 offset1:208
	v_add_nc_u32_e32 v18, 0x2400, v28
	v_lshlrev_b64 v[8:9], 3, v[24:25]
	v_add_nc_u32_e32 v24, 0x360, v32
	ds_load_2addr_b64 v[4:7], v4 offset0:96 offset1:240
	v_add_co_u32 v10, vcc_lo, v33, v16
	v_add_co_ci_u32_e32 v11, vcc_lo, v34, v17, vcc_lo
	v_lshlrev_b64 v[12:13], 3, v[24:25]
	v_add_nc_u32_e32 v24, 0x3f0, v32
	v_add_co_u32 v8, vcc_lo, v33, v8
	v_add_co_ci_u32_e32 v9, vcc_lo, v34, v9, vcc_lo
	s_delay_alu instid0(VALU_DEP_3) | instskip(SKIP_3) | instid1(VALU_DEP_4)
	v_lshlrev_b64 v[14:15], 3, v[24:25]
	v_add_co_u32 v12, vcc_lo, v33, v12
	v_add_nc_u32_e32 v24, 0x480, v32
	v_add_co_ci_u32_e32 v13, vcc_lo, v34, v13, vcc_lo
	v_add_co_u32 v14, vcc_lo, v33, v14
	v_add_co_ci_u32_e32 v15, vcc_lo, v34, v15, vcc_lo
	s_delay_alu instid0(VALU_DEP_4)
	v_lshlrev_b64 v[16:17], 3, v[24:25]
	v_add_nc_u32_e32 v24, 0x510, v32
	s_waitcnt lgkmcnt(1)
	s_clause 0x1
	global_store_b64 v[10:11], v[0:1], off
	global_store_b64 v[8:9], v[2:3], off
	s_waitcnt lgkmcnt(0)
	s_clause 0x1
	global_store_b64 v[12:13], v[4:5], off
	global_store_b64 v[14:15], v[6:7], off
	v_add_nc_u32_e32 v4, 0x2c00, v28
	ds_load_2addr_b64 v[0:3], v18 offset1:144
	v_add_nc_u32_e32 v18, 0x3400, v28
	v_lshlrev_b64 v[8:9], 3, v[24:25]
	v_add_nc_u32_e32 v24, 0x5a0, v32
	ds_load_2addr_b64 v[4:7], v4 offset0:32 offset1:176
	v_add_co_u32 v10, vcc_lo, v33, v16
	v_add_co_ci_u32_e32 v11, vcc_lo, v34, v17, vcc_lo
	v_lshlrev_b64 v[12:13], 3, v[24:25]
	v_add_nc_u32_e32 v24, 0x630, v32
	v_add_co_u32 v8, vcc_lo, v33, v8
	v_add_co_ci_u32_e32 v9, vcc_lo, v34, v9, vcc_lo
	s_delay_alu instid0(VALU_DEP_3) | instskip(SKIP_3) | instid1(VALU_DEP_4)
	v_lshlrev_b64 v[14:15], 3, v[24:25]
	v_add_co_u32 v12, vcc_lo, v33, v12
	v_add_nc_u32_e32 v24, 0x6c0, v32
	v_add_co_ci_u32_e32 v13, vcc_lo, v34, v13, vcc_lo
	v_add_co_u32 v14, vcc_lo, v33, v14
	v_add_co_ci_u32_e32 v15, vcc_lo, v34, v15, vcc_lo
	s_delay_alu instid0(VALU_DEP_4)
	v_lshlrev_b64 v[16:17], 3, v[24:25]
	v_add_nc_u32_e32 v24, 0x750, v32
	s_waitcnt lgkmcnt(1)
	s_clause 0x1
	global_store_b64 v[10:11], v[0:1], off
	global_store_b64 v[8:9], v[2:3], off
	s_waitcnt lgkmcnt(0)
	s_clause 0x1
	global_store_b64 v[12:13], v[4:5], off
	global_store_b64 v[14:15], v[6:7], off
	v_add_nc_u32_e32 v4, 0x3c00, v28
	ds_load_2addr_b64 v[0:3], v18 offset0:64 offset1:208
	v_add_nc_u32_e32 v18, 0x4800, v28
	v_lshlrev_b64 v[8:9], 3, v[24:25]
	v_add_nc_u32_e32 v24, 0x7e0, v32
	ds_load_2addr_b64 v[4:7], v4 offset0:96 offset1:240
	v_add_co_u32 v10, vcc_lo, v33, v16
	v_add_co_ci_u32_e32 v11, vcc_lo, v34, v17, vcc_lo
	v_lshlrev_b64 v[12:13], 3, v[24:25]
	v_add_nc_u32_e32 v24, 0x870, v32
	v_add_co_u32 v8, vcc_lo, v33, v8
	v_add_co_ci_u32_e32 v9, vcc_lo, v34, v9, vcc_lo
	s_delay_alu instid0(VALU_DEP_3) | instskip(SKIP_3) | instid1(VALU_DEP_3)
	v_lshlrev_b64 v[14:15], 3, v[24:25]
	v_add_nc_u32_e32 v24, 0x900, v32
	v_add_co_u32 v12, vcc_lo, v33, v12
	v_add_co_ci_u32_e32 v13, vcc_lo, v34, v13, vcc_lo
	v_lshlrev_b64 v[16:17], 3, v[24:25]
	v_add_nc_u32_e32 v24, 0x990, v32
	v_add_co_u32 v14, vcc_lo, v33, v14
	v_add_co_ci_u32_e32 v15, vcc_lo, v34, v15, vcc_lo
	s_waitcnt lgkmcnt(1)
	s_clause 0x1
	global_store_b64 v[10:11], v[0:1], off
	global_store_b64 v[8:9], v[2:3], off
	s_waitcnt lgkmcnt(0)
	s_clause 0x1
	global_store_b64 v[12:13], v[4:5], off
	global_store_b64 v[14:15], v[6:7], off
	v_lshlrev_b64 v[4:5], 3, v[24:25]
	v_add_nc_u32_e32 v24, 0xa20, v32
	v_add_co_u32 v16, vcc_lo, v33, v16
	v_add_co_ci_u32_e32 v17, vcc_lo, v34, v17, vcc_lo
	s_delay_alu instid0(VALU_DEP_3)
	v_lshlrev_b64 v[8:9], 3, v[24:25]
	v_add_nc_u32_e32 v24, 0xab0, v32
	ds_load_2addr_b64 v[0:3], v18 offset1:144
	v_add_co_u32 v18, vcc_lo, v33, v4
	v_add_nc_u32_e32 v6, 0x5000, v28
	v_lshlrev_b64 v[10:11], 3, v[24:25]
	v_add_nc_u32_e32 v24, 0xb40, v32
	v_add_co_ci_u32_e32 v19, vcc_lo, v34, v5, vcc_lo
	v_add_co_u32 v20, vcc_lo, v33, v8
	s_delay_alu instid0(VALU_DEP_3)
	v_lshlrev_b64 v[12:13], 3, v[24:25]
	v_add_nc_u32_e32 v24, 0xbd0, v32
	v_add_nc_u32_e32 v8, 0x5800, v28
	v_add_co_ci_u32_e32 v21, vcc_lo, v34, v9, vcc_lo
	v_add_co_u32 v22, vcc_lo, v33, v10
	v_add_nc_u32_e32 v14, 0x6000, v28
	ds_load_2addr_b64 v[4:7], v6 offset0:32 offset1:176
	v_lshlrev_b64 v[26:27], 3, v[24:25]
	v_add_nc_u32_e32 v24, 0xc60, v32
	v_add_co_ci_u32_e32 v23, vcc_lo, v34, v11, vcc_lo
	ds_load_2addr_b64 v[8:11], v8 offset0:64 offset1:208
	v_add_co_u32 v28, vcc_lo, v33, v12
	v_add_co_ci_u32_e32 v29, vcc_lo, v34, v13, vcc_lo
	ds_load_2addr_b64 v[12:15], v14 offset0:96 offset1:240
	v_lshlrev_b64 v[30:31], 3, v[24:25]
	v_add_nc_u32_e32 v24, 0xcf0, v32
	v_add_co_u32 v26, vcc_lo, v33, v26
	v_add_co_ci_u32_e32 v27, vcc_lo, v34, v27, vcc_lo
	s_delay_alu instid0(VALU_DEP_3) | instskip(SKIP_2) | instid1(VALU_DEP_3)
	v_lshlrev_b64 v[24:25], 3, v[24:25]
	v_add_co_u32 v30, vcc_lo, v33, v30
	v_add_co_ci_u32_e32 v31, vcc_lo, v34, v31, vcc_lo
	v_add_co_u32 v24, vcc_lo, v33, v24
	s_delay_alu instid0(VALU_DEP_4)
	v_add_co_ci_u32_e32 v25, vcc_lo, v34, v25, vcc_lo
	s_waitcnt lgkmcnt(3)
	s_clause 0x1
	global_store_b64 v[16:17], v[0:1], off
	global_store_b64 v[18:19], v[2:3], off
	s_waitcnt lgkmcnt(2)
	s_clause 0x1
	global_store_b64 v[20:21], v[4:5], off
	global_store_b64 v[22:23], v[6:7], off
	;; [unrolled: 4-line block ×4, first 2 shown]
.LBB0_19:
	s_nop 0
	s_sendmsg sendmsg(MSG_DEALLOC_VGPRS)
	s_endpgm
	.section	.rodata,"a",@progbits
	.p2align	6, 0x0
	.amdhsa_kernel fft_rtc_back_len3456_factors_6_6_6_4_4_wgs_144_tpt_144_halfLds_sp_ip_CI_unitstride_sbrr_C2R_dirReg
		.amdhsa_group_segment_fixed_size 0
		.amdhsa_private_segment_fixed_size 0
		.amdhsa_kernarg_size 88
		.amdhsa_user_sgpr_count 15
		.amdhsa_user_sgpr_dispatch_ptr 0
		.amdhsa_user_sgpr_queue_ptr 0
		.amdhsa_user_sgpr_kernarg_segment_ptr 1
		.amdhsa_user_sgpr_dispatch_id 0
		.amdhsa_user_sgpr_private_segment_size 0
		.amdhsa_wavefront_size32 1
		.amdhsa_uses_dynamic_stack 0
		.amdhsa_enable_private_segment 0
		.amdhsa_system_sgpr_workgroup_id_x 1
		.amdhsa_system_sgpr_workgroup_id_y 0
		.amdhsa_system_sgpr_workgroup_id_z 0
		.amdhsa_system_sgpr_workgroup_info 0
		.amdhsa_system_vgpr_workitem_id 0
		.amdhsa_next_free_vgpr 101
		.amdhsa_next_free_sgpr 21
		.amdhsa_reserve_vcc 1
		.amdhsa_float_round_mode_32 0
		.amdhsa_float_round_mode_16_64 0
		.amdhsa_float_denorm_mode_32 3
		.amdhsa_float_denorm_mode_16_64 3
		.amdhsa_dx10_clamp 1
		.amdhsa_ieee_mode 1
		.amdhsa_fp16_overflow 0
		.amdhsa_workgroup_processor_mode 1
		.amdhsa_memory_ordered 1
		.amdhsa_forward_progress 0
		.amdhsa_shared_vgpr_count 0
		.amdhsa_exception_fp_ieee_invalid_op 0
		.amdhsa_exception_fp_denorm_src 0
		.amdhsa_exception_fp_ieee_div_zero 0
		.amdhsa_exception_fp_ieee_overflow 0
		.amdhsa_exception_fp_ieee_underflow 0
		.amdhsa_exception_fp_ieee_inexact 0
		.amdhsa_exception_int_div_zero 0
	.end_amdhsa_kernel
	.text
.Lfunc_end0:
	.size	fft_rtc_back_len3456_factors_6_6_6_4_4_wgs_144_tpt_144_halfLds_sp_ip_CI_unitstride_sbrr_C2R_dirReg, .Lfunc_end0-fft_rtc_back_len3456_factors_6_6_6_4_4_wgs_144_tpt_144_halfLds_sp_ip_CI_unitstride_sbrr_C2R_dirReg
                                        ; -- End function
	.section	.AMDGPU.csdata,"",@progbits
; Kernel info:
; codeLenInByte = 14356
; NumSgprs: 23
; NumVgprs: 101
; ScratchSize: 0
; MemoryBound: 0
; FloatMode: 240
; IeeeMode: 1
; LDSByteSize: 0 bytes/workgroup (compile time only)
; SGPRBlocks: 2
; VGPRBlocks: 12
; NumSGPRsForWavesPerEU: 23
; NumVGPRsForWavesPerEU: 101
; Occupancy: 12
; WaveLimiterHint : 1
; COMPUTE_PGM_RSRC2:SCRATCH_EN: 0
; COMPUTE_PGM_RSRC2:USER_SGPR: 15
; COMPUTE_PGM_RSRC2:TRAP_HANDLER: 0
; COMPUTE_PGM_RSRC2:TGID_X_EN: 1
; COMPUTE_PGM_RSRC2:TGID_Y_EN: 0
; COMPUTE_PGM_RSRC2:TGID_Z_EN: 0
; COMPUTE_PGM_RSRC2:TIDIG_COMP_CNT: 0
	.text
	.p2alignl 7, 3214868480
	.fill 96, 4, 3214868480
	.type	__hip_cuid_2d36d953e6339414,@object ; @__hip_cuid_2d36d953e6339414
	.section	.bss,"aw",@nobits
	.globl	__hip_cuid_2d36d953e6339414
__hip_cuid_2d36d953e6339414:
	.byte	0                               ; 0x0
	.size	__hip_cuid_2d36d953e6339414, 1

	.ident	"AMD clang version 19.0.0git (https://github.com/RadeonOpenCompute/llvm-project roc-6.4.0 25133 c7fe45cf4b819c5991fe208aaa96edf142730f1d)"
	.section	".note.GNU-stack","",@progbits
	.addrsig
	.addrsig_sym __hip_cuid_2d36d953e6339414
	.amdgpu_metadata
---
amdhsa.kernels:
  - .args:
      - .actual_access:  read_only
        .address_space:  global
        .offset:         0
        .size:           8
        .value_kind:     global_buffer
      - .offset:         8
        .size:           8
        .value_kind:     by_value
      - .actual_access:  read_only
        .address_space:  global
        .offset:         16
        .size:           8
        .value_kind:     global_buffer
      - .actual_access:  read_only
        .address_space:  global
        .offset:         24
        .size:           8
        .value_kind:     global_buffer
      - .offset:         32
        .size:           8
        .value_kind:     by_value
      - .actual_access:  read_only
        .address_space:  global
        .offset:         40
        .size:           8
        .value_kind:     global_buffer
      - .actual_access:  read_only
        .address_space:  global
        .offset:         48
        .size:           8
        .value_kind:     global_buffer
      - .offset:         56
        .size:           4
        .value_kind:     by_value
      - .actual_access:  read_only
        .address_space:  global
        .offset:         64
        .size:           8
        .value_kind:     global_buffer
      - .actual_access:  read_only
        .address_space:  global
        .offset:         72
        .size:           8
        .value_kind:     global_buffer
      - .address_space:  global
        .offset:         80
        .size:           8
        .value_kind:     global_buffer
    .group_segment_fixed_size: 0
    .kernarg_segment_align: 8
    .kernarg_segment_size: 88
    .language:       OpenCL C
    .language_version:
      - 2
      - 0
    .max_flat_workgroup_size: 144
    .name:           fft_rtc_back_len3456_factors_6_6_6_4_4_wgs_144_tpt_144_halfLds_sp_ip_CI_unitstride_sbrr_C2R_dirReg
    .private_segment_fixed_size: 0
    .sgpr_count:     23
    .sgpr_spill_count: 0
    .symbol:         fft_rtc_back_len3456_factors_6_6_6_4_4_wgs_144_tpt_144_halfLds_sp_ip_CI_unitstride_sbrr_C2R_dirReg.kd
    .uniform_work_group_size: 1
    .uses_dynamic_stack: false
    .vgpr_count:     101
    .vgpr_spill_count: 0
    .wavefront_size: 32
    .workgroup_processor_mode: 1
amdhsa.target:   amdgcn-amd-amdhsa--gfx1100
amdhsa.version:
  - 1
  - 2
...

	.end_amdgpu_metadata
